;; amdgpu-corpus repo=ROCm/rocFFT kind=compiled arch=gfx1201 opt=O3
	.text
	.amdgcn_target "amdgcn-amd-amdhsa--gfx1201"
	.amdhsa_code_object_version 6
	.protected	fft_rtc_fwd_len3750_factors_3_5_5_10_5_wgs_125_tpt_125_halfLds_sp_ip_CI_unitstride_sbrr_C2R_dirReg ; -- Begin function fft_rtc_fwd_len3750_factors_3_5_5_10_5_wgs_125_tpt_125_halfLds_sp_ip_CI_unitstride_sbrr_C2R_dirReg
	.globl	fft_rtc_fwd_len3750_factors_3_5_5_10_5_wgs_125_tpt_125_halfLds_sp_ip_CI_unitstride_sbrr_C2R_dirReg
	.p2align	8
	.type	fft_rtc_fwd_len3750_factors_3_5_5_10_5_wgs_125_tpt_125_halfLds_sp_ip_CI_unitstride_sbrr_C2R_dirReg,@function
fft_rtc_fwd_len3750_factors_3_5_5_10_5_wgs_125_tpt_125_halfLds_sp_ip_CI_unitstride_sbrr_C2R_dirReg: ; @fft_rtc_fwd_len3750_factors_3_5_5_10_5_wgs_125_tpt_125_halfLds_sp_ip_CI_unitstride_sbrr_C2R_dirReg
; %bb.0:
	s_clause 0x2
	s_load_b128 s[4:7], s[0:1], 0x0
	s_load_b64 s[8:9], s[0:1], 0x50
	s_load_b64 s[10:11], s[0:1], 0x18
	v_mul_u32_u24_e32 v1, 0x20d, v0
	v_mov_b32_e32 v3, 0
	s_delay_alu instid0(VALU_DEP_2) | instskip(NEXT) | instid1(VALU_DEP_1)
	v_lshrrev_b32_e32 v1, 16, v1
	v_add_nc_u32_e32 v5, ttmp9, v1
	v_mov_b32_e32 v1, 0
	v_mov_b32_e32 v2, 0
	;; [unrolled: 1-line block ×3, first 2 shown]
	s_wait_kmcnt 0x0
	v_cmp_lt_u64_e64 s2, s[6:7], 2
	s_delay_alu instid0(VALU_DEP_1)
	s_and_b32 vcc_lo, exec_lo, s2
	s_cbranch_vccnz .LBB0_8
; %bb.1:
	s_load_b64 s[2:3], s[0:1], 0x10
	v_mov_b32_e32 v1, 0
	v_mov_b32_e32 v2, 0
	s_add_nc_u64 s[12:13], s[10:11], 8
	s_mov_b64 s[14:15], 1
	s_wait_kmcnt 0x0
	s_add_nc_u64 s[16:17], s[2:3], 8
	s_mov_b32 s3, 0
.LBB0_2:                                ; =>This Inner Loop Header: Depth=1
	s_load_b64 s[18:19], s[16:17], 0x0
                                        ; implicit-def: $vgpr7_vgpr8
	s_mov_b32 s2, exec_lo
	s_wait_kmcnt 0x0
	v_or_b32_e32 v4, s19, v6
	s_delay_alu instid0(VALU_DEP_1)
	v_cmpx_ne_u64_e32 0, v[3:4]
	s_wait_alu 0xfffe
	s_xor_b32 s20, exec_lo, s2
	s_cbranch_execz .LBB0_4
; %bb.3:                                ;   in Loop: Header=BB0_2 Depth=1
	s_cvt_f32_u32 s2, s18
	s_cvt_f32_u32 s21, s19
	s_sub_nc_u64 s[24:25], 0, s[18:19]
	s_wait_alu 0xfffe
	s_delay_alu instid0(SALU_CYCLE_1) | instskip(SKIP_1) | instid1(SALU_CYCLE_2)
	s_fmamk_f32 s2, s21, 0x4f800000, s2
	s_wait_alu 0xfffe
	v_s_rcp_f32 s2, s2
	s_delay_alu instid0(TRANS32_DEP_1) | instskip(SKIP_1) | instid1(SALU_CYCLE_2)
	s_mul_f32 s2, s2, 0x5f7ffffc
	s_wait_alu 0xfffe
	s_mul_f32 s21, s2, 0x2f800000
	s_wait_alu 0xfffe
	s_delay_alu instid0(SALU_CYCLE_2) | instskip(SKIP_1) | instid1(SALU_CYCLE_2)
	s_trunc_f32 s21, s21
	s_wait_alu 0xfffe
	s_fmamk_f32 s2, s21, 0xcf800000, s2
	s_cvt_u32_f32 s23, s21
	s_wait_alu 0xfffe
	s_delay_alu instid0(SALU_CYCLE_1) | instskip(SKIP_1) | instid1(SALU_CYCLE_2)
	s_cvt_u32_f32 s22, s2
	s_wait_alu 0xfffe
	s_mul_u64 s[26:27], s[24:25], s[22:23]
	s_wait_alu 0xfffe
	s_mul_hi_u32 s29, s22, s27
	s_mul_i32 s28, s22, s27
	s_mul_hi_u32 s2, s22, s26
	s_mul_i32 s30, s23, s26
	s_wait_alu 0xfffe
	s_add_nc_u64 s[28:29], s[2:3], s[28:29]
	s_mul_hi_u32 s21, s23, s26
	s_mul_hi_u32 s31, s23, s27
	s_add_co_u32 s2, s28, s30
	s_wait_alu 0xfffe
	s_add_co_ci_u32 s2, s29, s21
	s_mul_i32 s26, s23, s27
	s_add_co_ci_u32 s27, s31, 0
	s_wait_alu 0xfffe
	s_add_nc_u64 s[26:27], s[2:3], s[26:27]
	s_wait_alu 0xfffe
	v_add_co_u32 v4, s2, s22, s26
	s_delay_alu instid0(VALU_DEP_1) | instskip(SKIP_1) | instid1(VALU_DEP_1)
	s_cmp_lg_u32 s2, 0
	s_add_co_ci_u32 s23, s23, s27
	v_readfirstlane_b32 s22, v4
	s_wait_alu 0xfffe
	s_delay_alu instid0(VALU_DEP_1)
	s_mul_u64 s[24:25], s[24:25], s[22:23]
	s_wait_alu 0xfffe
	s_mul_hi_u32 s27, s22, s25
	s_mul_i32 s26, s22, s25
	s_mul_hi_u32 s2, s22, s24
	s_mul_i32 s28, s23, s24
	s_wait_alu 0xfffe
	s_add_nc_u64 s[26:27], s[2:3], s[26:27]
	s_mul_hi_u32 s21, s23, s24
	s_mul_hi_u32 s22, s23, s25
	s_wait_alu 0xfffe
	s_add_co_u32 s2, s26, s28
	s_add_co_ci_u32 s2, s27, s21
	s_mul_i32 s24, s23, s25
	s_add_co_ci_u32 s25, s22, 0
	s_wait_alu 0xfffe
	s_add_nc_u64 s[24:25], s[2:3], s[24:25]
	s_wait_alu 0xfffe
	v_add_co_u32 v4, s2, v4, s24
	s_delay_alu instid0(VALU_DEP_1) | instskip(SKIP_1) | instid1(VALU_DEP_1)
	s_cmp_lg_u32 s2, 0
	s_add_co_ci_u32 s2, s23, s25
	v_mul_hi_u32 v13, v5, v4
	s_wait_alu 0xfffe
	v_mad_co_u64_u32 v[7:8], null, v5, s2, 0
	v_mad_co_u64_u32 v[9:10], null, v6, v4, 0
	;; [unrolled: 1-line block ×3, first 2 shown]
	s_delay_alu instid0(VALU_DEP_3) | instskip(SKIP_1) | instid1(VALU_DEP_4)
	v_add_co_u32 v4, vcc_lo, v13, v7
	s_wait_alu 0xfffd
	v_add_co_ci_u32_e32 v7, vcc_lo, 0, v8, vcc_lo
	s_delay_alu instid0(VALU_DEP_2) | instskip(SKIP_1) | instid1(VALU_DEP_2)
	v_add_co_u32 v4, vcc_lo, v4, v9
	s_wait_alu 0xfffd
	v_add_co_ci_u32_e32 v4, vcc_lo, v7, v10, vcc_lo
	s_wait_alu 0xfffd
	v_add_co_ci_u32_e32 v7, vcc_lo, 0, v12, vcc_lo
	s_delay_alu instid0(VALU_DEP_2) | instskip(SKIP_1) | instid1(VALU_DEP_2)
	v_add_co_u32 v4, vcc_lo, v4, v11
	s_wait_alu 0xfffd
	v_add_co_ci_u32_e32 v9, vcc_lo, 0, v7, vcc_lo
	s_delay_alu instid0(VALU_DEP_2) | instskip(SKIP_1) | instid1(VALU_DEP_3)
	v_mul_lo_u32 v10, s19, v4
	v_mad_co_u64_u32 v[7:8], null, s18, v4, 0
	v_mul_lo_u32 v11, s18, v9
	s_delay_alu instid0(VALU_DEP_2) | instskip(NEXT) | instid1(VALU_DEP_2)
	v_sub_co_u32 v7, vcc_lo, v5, v7
	v_add3_u32 v8, v8, v11, v10
	s_delay_alu instid0(VALU_DEP_1) | instskip(SKIP_1) | instid1(VALU_DEP_1)
	v_sub_nc_u32_e32 v10, v6, v8
	s_wait_alu 0xfffd
	v_subrev_co_ci_u32_e64 v10, s2, s19, v10, vcc_lo
	v_add_co_u32 v11, s2, v4, 2
	s_wait_alu 0xf1ff
	v_add_co_ci_u32_e64 v12, s2, 0, v9, s2
	v_sub_co_u32 v13, s2, v7, s18
	v_sub_co_ci_u32_e32 v8, vcc_lo, v6, v8, vcc_lo
	s_wait_alu 0xf1ff
	v_subrev_co_ci_u32_e64 v10, s2, 0, v10, s2
	s_delay_alu instid0(VALU_DEP_3) | instskip(NEXT) | instid1(VALU_DEP_3)
	v_cmp_le_u32_e32 vcc_lo, s18, v13
	v_cmp_eq_u32_e64 s2, s19, v8
	s_wait_alu 0xfffd
	v_cndmask_b32_e64 v13, 0, -1, vcc_lo
	v_cmp_le_u32_e32 vcc_lo, s19, v10
	s_wait_alu 0xfffd
	v_cndmask_b32_e64 v14, 0, -1, vcc_lo
	v_cmp_le_u32_e32 vcc_lo, s18, v7
	;; [unrolled: 3-line block ×3, first 2 shown]
	s_wait_alu 0xfffd
	v_cndmask_b32_e64 v15, 0, -1, vcc_lo
	v_cmp_eq_u32_e32 vcc_lo, s19, v10
	s_wait_alu 0xf1ff
	s_delay_alu instid0(VALU_DEP_2)
	v_cndmask_b32_e64 v7, v15, v7, s2
	s_wait_alu 0xfffd
	v_cndmask_b32_e32 v10, v14, v13, vcc_lo
	v_add_co_u32 v13, vcc_lo, v4, 1
	s_wait_alu 0xfffd
	v_add_co_ci_u32_e32 v14, vcc_lo, 0, v9, vcc_lo
	s_delay_alu instid0(VALU_DEP_3) | instskip(SKIP_2) | instid1(VALU_DEP_3)
	v_cmp_ne_u32_e32 vcc_lo, 0, v10
	s_wait_alu 0xfffd
	v_cndmask_b32_e32 v10, v13, v11, vcc_lo
	v_cndmask_b32_e32 v8, v14, v12, vcc_lo
	v_cmp_ne_u32_e32 vcc_lo, 0, v7
	s_wait_alu 0xfffd
	s_delay_alu instid0(VALU_DEP_2)
	v_dual_cndmask_b32 v7, v4, v10 :: v_dual_cndmask_b32 v8, v9, v8
.LBB0_4:                                ;   in Loop: Header=BB0_2 Depth=1
	s_wait_alu 0xfffe
	s_and_not1_saveexec_b32 s2, s20
	s_cbranch_execz .LBB0_6
; %bb.5:                                ;   in Loop: Header=BB0_2 Depth=1
	v_cvt_f32_u32_e32 v4, s18
	s_sub_co_i32 s20, 0, s18
	s_delay_alu instid0(VALU_DEP_1) | instskip(NEXT) | instid1(TRANS32_DEP_1)
	v_rcp_iflag_f32_e32 v4, v4
	v_mul_f32_e32 v4, 0x4f7ffffe, v4
	s_delay_alu instid0(VALU_DEP_1) | instskip(SKIP_1) | instid1(VALU_DEP_1)
	v_cvt_u32_f32_e32 v4, v4
	s_wait_alu 0xfffe
	v_mul_lo_u32 v7, s20, v4
	s_delay_alu instid0(VALU_DEP_1) | instskip(NEXT) | instid1(VALU_DEP_1)
	v_mul_hi_u32 v7, v4, v7
	v_add_nc_u32_e32 v4, v4, v7
	s_delay_alu instid0(VALU_DEP_1) | instskip(NEXT) | instid1(VALU_DEP_1)
	v_mul_hi_u32 v4, v5, v4
	v_mul_lo_u32 v7, v4, s18
	v_add_nc_u32_e32 v8, 1, v4
	s_delay_alu instid0(VALU_DEP_2) | instskip(NEXT) | instid1(VALU_DEP_1)
	v_sub_nc_u32_e32 v7, v5, v7
	v_subrev_nc_u32_e32 v9, s18, v7
	v_cmp_le_u32_e32 vcc_lo, s18, v7
	s_wait_alu 0xfffd
	s_delay_alu instid0(VALU_DEP_2) | instskip(NEXT) | instid1(VALU_DEP_1)
	v_dual_cndmask_b32 v7, v7, v9 :: v_dual_cndmask_b32 v4, v4, v8
	v_cmp_le_u32_e32 vcc_lo, s18, v7
	s_delay_alu instid0(VALU_DEP_2) | instskip(SKIP_1) | instid1(VALU_DEP_1)
	v_add_nc_u32_e32 v8, 1, v4
	s_wait_alu 0xfffd
	v_dual_cndmask_b32 v7, v4, v8 :: v_dual_mov_b32 v8, v3
.LBB0_6:                                ;   in Loop: Header=BB0_2 Depth=1
	s_wait_alu 0xfffe
	s_or_b32 exec_lo, exec_lo, s2
	s_load_b64 s[20:21], s[12:13], 0x0
	s_delay_alu instid0(VALU_DEP_1)
	v_mul_lo_u32 v4, v8, s18
	v_mul_lo_u32 v11, v7, s19
	v_mad_co_u64_u32 v[9:10], null, v7, s18, 0
	s_add_nc_u64 s[14:15], s[14:15], 1
	s_add_nc_u64 s[12:13], s[12:13], 8
	s_wait_alu 0xfffe
	v_cmp_ge_u64_e64 s2, s[14:15], s[6:7]
	s_add_nc_u64 s[16:17], s[16:17], 8
	s_delay_alu instid0(VALU_DEP_2) | instskip(NEXT) | instid1(VALU_DEP_3)
	v_add3_u32 v4, v10, v11, v4
	v_sub_co_u32 v5, vcc_lo, v5, v9
	s_wait_alu 0xfffd
	s_delay_alu instid0(VALU_DEP_2) | instskip(SKIP_3) | instid1(VALU_DEP_2)
	v_sub_co_ci_u32_e32 v4, vcc_lo, v6, v4, vcc_lo
	s_and_b32 vcc_lo, exec_lo, s2
	s_wait_kmcnt 0x0
	v_mul_lo_u32 v6, s21, v5
	v_mul_lo_u32 v4, s20, v4
	v_mad_co_u64_u32 v[1:2], null, s20, v5, v[1:2]
	s_delay_alu instid0(VALU_DEP_1)
	v_add3_u32 v2, v6, v2, v4
	s_wait_alu 0xfffe
	s_cbranch_vccnz .LBB0_9
; %bb.7:                                ;   in Loop: Header=BB0_2 Depth=1
	v_dual_mov_b32 v5, v7 :: v_dual_mov_b32 v6, v8
	s_branch .LBB0_2
.LBB0_8:
	v_dual_mov_b32 v8, v6 :: v_dual_mov_b32 v7, v5
.LBB0_9:
	s_lshl_b64 s[2:3], s[6:7], 3
	v_mul_hi_u32 v5, 0x20c49bb, v0
	s_wait_alu 0xfffe
	s_add_nc_u64 s[2:3], s[10:11], s[2:3]
	s_load_b64 s[2:3], s[2:3], 0x0
	s_load_b64 s[0:1], s[0:1], 0x20
	s_wait_kmcnt 0x0
	v_mul_lo_u32 v3, s2, v8
	v_mul_lo_u32 v4, s3, v7
	v_mad_co_u64_u32 v[1:2], null, s2, v7, v[1:2]
	v_cmp_gt_u64_e32 vcc_lo, s[0:1], v[7:8]
	s_delay_alu instid0(VALU_DEP_2) | instskip(SKIP_1) | instid1(VALU_DEP_2)
	v_add3_u32 v2, v4, v2, v3
	v_mul_u32_u24_e32 v3, 0x7d, v5
	v_lshlrev_b64_e32 v[50:51], 3, v[1:2]
	s_delay_alu instid0(VALU_DEP_2)
	v_sub_nc_u32_e32 v48, v0, v3
	s_and_saveexec_b32 s1, vcc_lo
	s_cbranch_execz .LBB0_13
; %bb.10:
	s_delay_alu instid0(VALU_DEP_1)
	v_lshl_add_u32 v66, v48, 3, 0
	v_mov_b32_e32 v49, 0
	v_add_co_u32 v0, s0, s8, v50
	s_wait_alu 0xf1ff
	v_add_co_ci_u32_e64 v1, s0, s9, v51, s0
	v_add_nc_u32_e32 v68, 0xc00, v66
	v_lshlrev_b64_e32 v[2:3], 3, v[48:49]
	v_add_nc_u32_e32 v67, 0x400, v66
	v_add_nc_u32_e32 v69, 0x1400, v66
	;; [unrolled: 1-line block ×5, first 2 shown]
	v_add_co_u32 v2, s0, v0, v2
	s_wait_alu 0xf1ff
	v_add_co_ci_u32_e64 v3, s0, v1, v3, s0
	v_cmp_eq_u32_e64 s0, 0x7c, v48
	s_clause 0x1d
	global_load_b64 v[4:5], v[2:3], off
	global_load_b64 v[6:7], v[2:3], off offset:1000
	global_load_b64 v[8:9], v[2:3], off offset:2000
	;; [unrolled: 1-line block ×29, first 2 shown]
	v_add_nc_u32_e32 v73, 0x3400, v66
	v_add_nc_u32_e32 v74, 0x3c00, v66
	;; [unrolled: 1-line block ×8, first 2 shown]
	s_wait_loadcnt 0x1c
	ds_store_2addr_b64 v66, v[4:5], v[6:7] offset1:125
	s_wait_loadcnt 0x1a
	ds_store_2addr_b64 v67, v[8:9], v[10:11] offset0:122 offset1:247
	s_wait_loadcnt 0x18
	ds_store_2addr_b64 v68, v[12:13], v[14:15] offset0:116 offset1:241
	;; [unrolled: 2-line block ×14, first 2 shown]
	s_and_saveexec_b32 s2, s0
	s_cbranch_execz .LBB0_12
; %bb.11:
	global_load_b64 v[0:1], v[0:1], off offset:30000
	v_mov_b32_e32 v48, 0x7c
	s_wait_loadcnt 0x0
	ds_store_b64 v49, v[0:1] offset:30000
.LBB0_12:
	s_wait_alu 0xfffe
	s_or_b32 exec_lo, exec_lo, s2
.LBB0_13:
	s_wait_alu 0xfffe
	s_or_b32 exec_lo, exec_lo, s1
	v_lshlrev_b32_e32 v0, 3, v48
	global_wb scope:SCOPE_SE
	s_wait_dscnt 0x0
	s_barrier_signal -1
	s_barrier_wait -1
	global_inv scope:SCOPE_SE
	v_add_nc_u32_e32 v52, 0, v0
	v_sub_nc_u32_e32 v4, 0, v0
	s_mov_b32 s1, exec_lo
                                        ; implicit-def: $vgpr2_vgpr3
	ds_load_b32 v5, v52
	ds_load_b32 v6, v4 offset:30000
	s_wait_dscnt 0x0
	v_dual_sub_f32 v1, v5, v6 :: v_dual_add_f32 v0, v6, v5
	v_cmpx_ne_u32_e32 0, v48
	s_wait_alu 0xfffe
	s_xor_b32 s1, exec_lo, s1
	s_cbranch_execz .LBB0_15
; %bb.14:
	v_dual_mov_b32 v49, 0 :: v_dual_sub_f32 v8, v5, v6
	s_delay_alu instid0(VALU_DEP_1) | instskip(NEXT) | instid1(VALU_DEP_1)
	v_lshlrev_b64_e32 v[0:1], 3, v[48:49]
	v_add_co_u32 v0, s0, s4, v0
	s_wait_alu 0xf1ff
	s_delay_alu instid0(VALU_DEP_2)
	v_add_co_ci_u32_e64 v1, s0, s5, v1, s0
	global_load_b64 v[2:3], v[0:1], off offset:29976
	ds_load_b32 v0, v4 offset:30004
	ds_load_b32 v1, v52 offset:4
	v_add_f32_e32 v7, v6, v5
	s_wait_dscnt 0x0
	v_dual_add_f32 v9, v0, v1 :: v_dual_sub_f32 v0, v1, v0
	s_wait_loadcnt 0x0
	s_delay_alu instid0(VALU_DEP_2) | instskip(NEXT) | instid1(VALU_DEP_2)
	v_fma_f32 v5, -v8, v3, v7
	v_fma_f32 v6, v9, v3, -v0
	v_fma_f32 v10, v8, v3, v7
	v_fma_f32 v1, v9, v3, v0
	s_delay_alu instid0(VALU_DEP_3) | instskip(NEXT) | instid1(VALU_DEP_3)
	v_dual_fmac_f32 v5, v2, v9 :: v_dual_fmac_f32 v6, v8, v2
	v_fma_f32 v0, -v2, v9, v10
	s_delay_alu instid0(VALU_DEP_3)
	v_fmac_f32_e32 v1, v8, v2
	v_dual_mov_b32 v2, v48 :: v_dual_mov_b32 v3, v49
	ds_store_b64 v4, v[5:6] offset:30000
.LBB0_15:
	s_wait_alu 0xfffe
	s_and_not1_saveexec_b32 s0, s1
	s_cbranch_execz .LBB0_17
; %bb.16:
	v_mov_b32_e32 v7, 0
	ds_load_b64 v[2:3], v7 offset:15000
	s_wait_dscnt 0x0
	v_dual_mul_f32 v6, -2.0, v3 :: v_dual_add_f32 v5, v2, v2
	v_mov_b32_e32 v2, 0
	v_mov_b32_e32 v3, 0
	ds_store_b64 v7, v[5:6] offset:15000
.LBB0_17:
	s_wait_alu 0xfffe
	s_or_b32 exec_lo, exec_lo, s0
	v_lshlrev_b64_e32 v[2:3], 3, v[2:3]
	s_add_nc_u64 s[0:1], s[4:5], 0x7518
	v_and_b32_e32 v73, 0xff, v48
	v_add_nc_u32_e32 v56, 0x400, v52
	v_add_nc_u32_e32 v54, 0x4c00, v52
	;; [unrolled: 1-line block ×3, first 2 shown]
	s_wait_alu 0xfffe
	v_add_co_u32 v5, s0, s0, v2
	s_wait_alu 0xf1ff
	v_add_co_ci_u32_e64 v6, s0, s1, v3, s0
	s_clause 0x6
	global_load_b64 v[2:3], v[5:6], off offset:1000
	global_load_b64 v[7:8], v[5:6], off offset:2000
	;; [unrolled: 1-line block ×7, first 2 shown]
	ds_store_b64 v52, v[0:1]
	ds_load_b64 v[0:1], v52 offset:1000
	ds_load_b64 v[19:20], v4 offset:29000
	global_load_b64 v[21:22], v[5:6], off offset:8000
	v_add_nc_u32_e32 v58, 0x3400, v52
	v_cmp_gt_u32_e64 s0, 0x4b, v48
	v_add_nc_u32_e32 v62, 0x6c00, v52
	v_add_nc_u32_e32 v64, 0x1c00, v52
	v_add_nc_u32_e32 v66, 0x7d, v48
	v_add_nc_u32_e32 v68, 0xfa, v48
	s_delay_alu instid0(VALU_DEP_2) | instskip(SKIP_1) | instid1(VALU_DEP_2)
	v_and_b32_e32 v71, 0xff, v66
	s_wait_dscnt 0x0
	v_dual_add_f32 v23, v0, v19 :: v_dual_and_b32 v72, 0xffff, v68
	v_sub_f32_e32 v25, v0, v19
	v_add_f32_e32 v24, v20, v1
	v_sub_f32_e32 v0, v1, v20
	s_wait_loadcnt 0x7
	s_delay_alu instid0(VALU_DEP_1) | instskip(SKIP_2) | instid1(VALU_DEP_3)
	v_fma_f32 v1, v24, v3, v0
	v_fma_f32 v26, v25, v3, v23
	v_fma_f32 v19, -v25, v3, v23
	v_fmac_f32_e32 v1, v25, v2
	v_fma_f32 v20, v24, v3, -v0
	s_delay_alu instid0(VALU_DEP_4) | instskip(NEXT) | instid1(VALU_DEP_2)
	v_fma_f32 v0, -v2, v24, v26
	v_dual_fmac_f32 v19, v2, v24 :: v_dual_fmac_f32 v20, v25, v2
	ds_store_b64 v52, v[0:1] offset:1000
	ds_store_b64 v4, v[19:20] offset:29000
	ds_load_b64 v[0:1], v52 offset:2000
	ds_load_b64 v[2:3], v4 offset:28000
	global_load_b64 v[19:20], v[5:6], off offset:9000
	s_wait_dscnt 0x0
	v_dual_add_f32 v23, v0, v2 :: v_dual_add_f32 v24, v3, v1
	v_dual_sub_f32 v25, v0, v2 :: v_dual_sub_f32 v0, v1, v3
	s_wait_loadcnt 0x7
	s_delay_alu instid0(VALU_DEP_1) | instskip(NEXT) | instid1(VALU_DEP_2)
	v_fma_f32 v2, -v25, v8, v23
	v_fma_f32 v1, v24, v8, v0
	v_fma_f32 v3, v24, v8, -v0
	s_delay_alu instid0(VALU_DEP_3) | instskip(SKIP_1) | instid1(VALU_DEP_4)
	v_fmac_f32_e32 v2, v7, v24
	v_fma_f32 v26, v25, v8, v23
	v_fmac_f32_e32 v1, v25, v7
	s_delay_alu instid0(VALU_DEP_4) | instskip(NEXT) | instid1(VALU_DEP_3)
	v_fmac_f32_e32 v3, v25, v7
	v_fma_f32 v0, -v7, v24, v26
	ds_store_b64 v52, v[0:1] offset:2000
	ds_store_b64 v4, v[2:3] offset:28000
	ds_load_b64 v[0:1], v52 offset:3000
	ds_load_b64 v[2:3], v4 offset:27000
	global_load_b64 v[7:8], v[5:6], off offset:10000
	s_wait_dscnt 0x0
	v_dual_add_f32 v23, v0, v2 :: v_dual_add_f32 v24, v3, v1
	v_dual_sub_f32 v25, v0, v2 :: v_dual_sub_f32 v0, v1, v3
	s_wait_loadcnt 0x7
	s_delay_alu instid0(VALU_DEP_1) | instskip(NEXT) | instid1(VALU_DEP_2)
	v_fma_f32 v26, v25, v10, v23
	v_fma_f32 v1, v24, v10, v0
	v_fma_f32 v2, -v25, v10, v23
	v_fma_f32 v3, v24, v10, -v0
	s_delay_alu instid0(VALU_DEP_4) | instskip(NEXT) | instid1(VALU_DEP_4)
	v_fma_f32 v0, -v9, v24, v26
	v_fmac_f32_e32 v1, v25, v9
	s_delay_alu instid0(VALU_DEP_4) | instskip(NEXT) | instid1(VALU_DEP_4)
	v_fmac_f32_e32 v2, v9, v24
	v_fmac_f32_e32 v3, v25, v9
	ds_store_b64 v52, v[0:1] offset:3000
	ds_store_b64 v4, v[2:3] offset:27000
	ds_load_b64 v[0:1], v52 offset:4000
	ds_load_b64 v[2:3], v4 offset:26000
	global_load_b64 v[9:10], v[5:6], off offset:11000
	s_wait_dscnt 0x0
	v_dual_add_f32 v23, v0, v2 :: v_dual_add_f32 v24, v3, v1
	v_dual_sub_f32 v25, v0, v2 :: v_dual_sub_f32 v0, v1, v3
	s_wait_loadcnt 0x7
	s_delay_alu instid0(VALU_DEP_1) | instskip(NEXT) | instid1(VALU_DEP_2)
	v_fma_f32 v26, v25, v12, v23
	v_fma_f32 v1, v24, v12, v0
	v_fma_f32 v2, -v25, v12, v23
	v_fma_f32 v3, v24, v12, -v0
	s_delay_alu instid0(VALU_DEP_4) | instskip(NEXT) | instid1(VALU_DEP_3)
	v_fma_f32 v0, -v11, v24, v26
	v_dual_fmac_f32 v1, v25, v11 :: v_dual_fmac_f32 v2, v11, v24
	s_delay_alu instid0(VALU_DEP_3)
	v_fmac_f32_e32 v3, v25, v11
	ds_store_b64 v52, v[0:1] offset:4000
	ds_store_b64 v4, v[2:3] offset:26000
	ds_load_b64 v[0:1], v52 offset:5000
	ds_load_b64 v[2:3], v4 offset:25000
	global_load_b64 v[11:12], v[5:6], off offset:12000
	s_wait_dscnt 0x0
	v_dual_add_f32 v23, v0, v2 :: v_dual_add_f32 v24, v3, v1
	v_dual_sub_f32 v25, v0, v2 :: v_dual_sub_f32 v0, v1, v3
	s_wait_loadcnt 0x7
	s_delay_alu instid0(VALU_DEP_1) | instskip(NEXT) | instid1(VALU_DEP_2)
	v_fma_f32 v26, v25, v14, v23
	v_fma_f32 v1, v24, v14, v0
	v_fma_f32 v2, -v25, v14, v23
	v_fma_f32 v3, v24, v14, -v0
	s_delay_alu instid0(VALU_DEP_4) | instskip(NEXT) | instid1(VALU_DEP_4)
	v_fma_f32 v0, -v13, v24, v26
	v_fmac_f32_e32 v1, v25, v13
	s_delay_alu instid0(VALU_DEP_4) | instskip(NEXT) | instid1(VALU_DEP_4)
	v_fmac_f32_e32 v2, v13, v24
	v_fmac_f32_e32 v3, v25, v13
	ds_store_b64 v52, v[0:1] offset:5000
	ds_store_b64 v4, v[2:3] offset:25000
	ds_load_b64 v[0:1], v52 offset:6000
	ds_load_b64 v[13:14], v4 offset:24000
	global_load_b64 v[2:3], v[5:6], off offset:13000
	s_wait_dscnt 0x0
	v_add_f32_e32 v23, v0, v13
	v_sub_f32_e32 v25, v0, v13
	v_add_f32_e32 v24, v14, v1
	s_wait_loadcnt 0x7
	s_delay_alu instid0(VALU_DEP_2) | instskip(SKIP_2) | instid1(VALU_DEP_3)
	v_fma_f32 v13, -v25, v16, v23
	v_sub_f32_e32 v0, v1, v14
	v_fma_f32 v26, v25, v16, v23
	v_fmac_f32_e32 v13, v15, v24
	s_delay_alu instid0(VALU_DEP_3) | instskip(SKIP_1) | instid1(VALU_DEP_4)
	v_fma_f32 v1, v24, v16, v0
	v_fma_f32 v14, v24, v16, -v0
	v_fma_f32 v0, -v15, v24, v26
	s_delay_alu instid0(VALU_DEP_3) | instskip(NEXT) | instid1(VALU_DEP_3)
	v_fmac_f32_e32 v1, v25, v15
	v_fmac_f32_e32 v14, v25, v15
	ds_store_b64 v52, v[0:1] offset:6000
	ds_store_b64 v4, v[13:14] offset:24000
	ds_load_b64 v[13:14], v52 offset:7000
	ds_load_b64 v[15:16], v4 offset:23000
	global_load_b64 v[0:1], v[5:6], off offset:14000
	s_wait_dscnt 0x0
	v_add_f32_e32 v5, v13, v15
	v_add_f32_e32 v23, v16, v14
	v_dual_sub_f32 v15, v13, v15 :: v_dual_sub_f32 v14, v14, v16
	s_wait_loadcnt 0x7
	s_delay_alu instid0(VALU_DEP_1) | instskip(NEXT) | instid1(VALU_DEP_2)
	v_fma_f32 v16, v15, v18, v5
	v_fma_f32 v6, v23, v18, v14
	v_fma_f32 v13, -v15, v18, v5
	v_fma_f32 v14, v23, v18, -v14
	s_delay_alu instid0(VALU_DEP_4) | instskip(NEXT) | instid1(VALU_DEP_3)
	v_fma_f32 v5, -v17, v23, v16
	v_dual_fmac_f32 v6, v15, v17 :: v_dual_fmac_f32 v13, v17, v23
	s_delay_alu instid0(VALU_DEP_3)
	v_fmac_f32_e32 v14, v15, v17
	ds_store_b64 v52, v[5:6] offset:7000
	ds_store_b64 v4, v[13:14] offset:23000
	ds_load_b64 v[5:6], v52 offset:8000
	ds_load_b64 v[13:14], v4 offset:22000
	s_wait_dscnt 0x0
	v_dual_add_f32 v15, v5, v13 :: v_dual_add_f32 v16, v14, v6
	v_sub_f32_e32 v17, v5, v13
	v_sub_f32_e32 v5, v6, v14
	s_wait_loadcnt 0x6
	s_delay_alu instid0(VALU_DEP_2) | instskip(NEXT) | instid1(VALU_DEP_2)
	v_fma_f32 v18, v17, v22, v15
	v_fma_f32 v14, v16, v22, -v5
	v_fma_f32 v13, -v17, v22, v15
	s_delay_alu instid0(VALU_DEP_2) | instskip(SKIP_2) | instid1(VALU_DEP_4)
	v_fmac_f32_e32 v14, v17, v21
	v_fma_f32 v6, v16, v22, v5
	v_fma_f32 v5, -v21, v16, v18
	v_fmac_f32_e32 v13, v21, v16
	s_delay_alu instid0(VALU_DEP_3)
	v_fmac_f32_e32 v6, v17, v21
	ds_store_b64 v52, v[5:6] offset:8000
	ds_store_b64 v4, v[13:14] offset:22000
	ds_load_b64 v[5:6], v52 offset:9000
	ds_load_b64 v[13:14], v4 offset:21000
	s_wait_dscnt 0x0
	v_dual_add_f32 v15, v5, v13 :: v_dual_add_f32 v16, v14, v6
	v_sub_f32_e32 v17, v5, v13
	v_sub_f32_e32 v5, v6, v14
	s_wait_loadcnt 0x5
	s_delay_alu instid0(VALU_DEP_1) | instskip(NEXT) | instid1(VALU_DEP_3)
	v_fma_f32 v6, v16, v20, v5
	v_fma_f32 v18, v17, v20, v15
	v_fma_f32 v13, -v17, v20, v15
	s_delay_alu instid0(VALU_DEP_3) | instskip(SKIP_1) | instid1(VALU_DEP_4)
	v_fmac_f32_e32 v6, v17, v19
	v_fma_f32 v14, v16, v20, -v5
	v_fma_f32 v5, -v19, v16, v18
	s_delay_alu instid0(VALU_DEP_2)
	v_dual_fmac_f32 v13, v19, v16 :: v_dual_fmac_f32 v14, v17, v19
	ds_store_b64 v52, v[5:6] offset:9000
	ds_store_b64 v4, v[13:14] offset:21000
	ds_load_b64 v[5:6], v52 offset:10000
	ds_load_b64 v[13:14], v4 offset:20000
	s_wait_dscnt 0x0
	v_dual_add_f32 v15, v5, v13 :: v_dual_add_f32 v16, v14, v6
	v_sub_f32_e32 v17, v5, v13
	v_sub_f32_e32 v5, v6, v14
	s_wait_loadcnt 0x4
	s_delay_alu instid0(VALU_DEP_1) | instskip(NEXT) | instid1(VALU_DEP_3)
	v_fma_f32 v6, v16, v8, v5
	v_fma_f32 v18, v17, v8, v15
	v_fma_f32 v13, -v17, v8, v15
	s_delay_alu instid0(VALU_DEP_3) | instskip(SKIP_1) | instid1(VALU_DEP_4)
	v_fmac_f32_e32 v6, v17, v7
	v_fma_f32 v14, v16, v8, -v5
	v_fma_f32 v5, -v7, v16, v18
	s_delay_alu instid0(VALU_DEP_2)
	v_dual_fmac_f32 v13, v7, v16 :: v_dual_fmac_f32 v14, v17, v7
	ds_store_b64 v52, v[5:6] offset:10000
	ds_store_b64 v4, v[13:14] offset:20000
	ds_load_b64 v[5:6], v52 offset:11000
	ds_load_b64 v[7:8], v4 offset:19000
	s_wait_dscnt 0x0
	v_dual_add_f32 v13, v5, v7 :: v_dual_add_f32 v14, v8, v6
	v_sub_f32_e32 v15, v5, v7
	v_sub_f32_e32 v5, v6, v8
	s_wait_loadcnt 0x3
	s_delay_alu instid0(VALU_DEP_2) | instskip(NEXT) | instid1(VALU_DEP_2)
	v_fma_f32 v16, v15, v10, v13
	v_fma_f32 v6, v14, v10, v5
	v_fma_f32 v7, -v15, v10, v13
	v_fma_f32 v8, v14, v10, -v5
	s_delay_alu instid0(VALU_DEP_4) | instskip(NEXT) | instid1(VALU_DEP_3)
	v_fma_f32 v5, -v9, v14, v16
	v_dual_fmac_f32 v6, v15, v9 :: v_dual_fmac_f32 v7, v9, v14
	s_delay_alu instid0(VALU_DEP_3)
	v_fmac_f32_e32 v8, v15, v9
	ds_store_b64 v52, v[5:6] offset:11000
	ds_store_b64 v4, v[7:8] offset:19000
	ds_load_b64 v[5:6], v52 offset:12000
	ds_load_b64 v[7:8], v4 offset:18000
	s_wait_dscnt 0x0
	v_dual_add_f32 v9, v5, v7 :: v_dual_add_f32 v10, v8, v6
	v_sub_f32_e32 v13, v5, v7
	v_sub_f32_e32 v5, v6, v8
	s_wait_loadcnt 0x2
	s_delay_alu instid0(VALU_DEP_2) | instskip(NEXT) | instid1(VALU_DEP_2)
	v_fma_f32 v14, v13, v12, v9
	v_fma_f32 v6, v10, v12, v5
	v_fma_f32 v7, -v13, v12, v9
	s_delay_alu instid0(VALU_DEP_2) | instskip(SKIP_2) | instid1(VALU_DEP_2)
	v_fmac_f32_e32 v6, v13, v11
	v_fma_f32 v8, v10, v12, -v5
	v_fma_f32 v5, -v11, v10, v14
	v_dual_fmac_f32 v7, v11, v10 :: v_dual_fmac_f32 v8, v13, v11
	ds_store_b64 v52, v[5:6] offset:12000
	ds_store_b64 v4, v[7:8] offset:18000
	ds_load_b64 v[6:7], v52 offset:13000
	ds_load_b64 v[8:9], v4 offset:17000
	v_mad_u32_u24 v5, v48, 24, 0
	s_delay_alu instid0(VALU_DEP_1)
	v_add_nc_u32_e32 v46, 0xbb8, v5
	v_add_nc_u32_e32 v70, 0x2ee0, v5
	;; [unrolled: 1-line block ×4, first 2 shown]
	s_wait_dscnt 0x0
	v_dual_add_f32 v10, v6, v8 :: v_dual_add_f32 v11, v9, v7
	v_sub_f32_e32 v12, v6, v8
	v_sub_f32_e32 v6, v7, v9
	s_wait_loadcnt 0x1
	s_delay_alu instid0(VALU_DEP_2) | instskip(NEXT) | instid1(VALU_DEP_2)
	v_fma_f32 v13, v12, v3, v10
	v_fma_f32 v7, v11, v3, v6
	v_fma_f32 v8, -v12, v3, v10
	v_fma_f32 v9, v11, v3, -v6
	v_add_nc_u32_e32 v49, 0x2400, v52
	v_fma_f32 v6, -v2, v11, v13
	s_delay_alu instid0(VALU_DEP_4) | instskip(NEXT) | instid1(VALU_DEP_4)
	v_dual_fmac_f32 v7, v12, v2 :: v_dual_fmac_f32 v8, v2, v11
	v_fmac_f32_e32 v9, v12, v2
	ds_store_b64 v52, v[6:7] offset:13000
	ds_store_b64 v4, v[8:9] offset:17000
	ds_load_b64 v[2:3], v52 offset:14000
	ds_load_b64 v[6:7], v4 offset:16000
	v_mul_lo_u16 v8, 0xab, v73
	v_add_nc_u32_e32 v59, 0x2c00, v52
	v_add_nc_u32_e32 v53, 0x5400, v52
	;; [unrolled: 1-line block ×4, first 2 shown]
	v_lshrrev_b16 v75, 9, v8
	v_mul_lo_u16 v8, 0xab, v71
	v_mul_u32_u24_e32 v9, 0xaaab, v72
	s_delay_alu instid0(VALU_DEP_3) | instskip(NEXT) | instid1(VALU_DEP_3)
	v_mul_lo_u16 v10, v75, 3
	v_lshrrev_b16 v74, 9, v8
	s_delay_alu instid0(VALU_DEP_3) | instskip(NEXT) | instid1(VALU_DEP_3)
	v_lshrrev_b32_e32 v82, 17, v9
	v_sub_nc_u16 v9, v48, v10
	s_delay_alu instid0(VALU_DEP_3) | instskip(NEXT) | instid1(VALU_DEP_3)
	v_mul_lo_u16 v10, v74, 3
	v_mul_lo_u16 v105, v82, 3
	s_wait_dscnt 0x0
	v_dual_add_f32 v8, v2, v6 :: v_dual_add_f32 v11, v7, v3
	v_dual_sub_f32 v3, v3, v7 :: v_dual_sub_f32 v12, v2, v6
	v_and_b32_e32 v83, 0xff, v9
	s_wait_loadcnt 0x0
	s_delay_alu instid0(VALU_DEP_2) | instskip(NEXT) | instid1(VALU_DEP_3)
	v_fma_f32 v2, v11, v1, v3
	v_fma_f32 v13, v12, v1, v8
	v_fma_f32 v6, -v12, v1, v8
	v_fma_f32 v7, v11, v1, -v3
	s_delay_alu instid0(VALU_DEP_4) | instskip(SKIP_4) | instid1(VALU_DEP_4)
	v_dual_fmac_f32 v2, v12, v0 :: v_dual_add_nc_u32 v47, 0x1770, v5
	v_sub_nc_u16 v3, v66, v10
	v_fma_f32 v1, -v0, v11, v13
	v_dual_fmac_f32 v6, v0, v11 :: v_dual_add_nc_u32 v55, 0xc00, v52
	v_dual_fmac_f32 v7, v12, v0 :: v_dual_lshlrev_b32 v106, 5, v83
	v_and_b32_e32 v81, 0xff, v3
	ds_store_b64 v52, v[1:2] offset:14000
	ds_store_b64 v4, v[6:7] offset:16000
	global_wb scope:SCOPE_SE
	s_wait_dscnt 0x0
	s_barrier_signal -1
	s_barrier_wait -1
	global_inv scope:SCOPE_SE
	global_wb scope:SCOPE_SE
	s_barrier_signal -1
	s_barrier_wait -1
	global_inv scope:SCOPE_SE
	ds_load_2addr_b64 v[0:3], v52 offset1:125
	ds_load_2addr_b64 v[6:9], v49 offset0:98 offset1:223
	ds_load_2addr_b64 v[10:13], v54 offset0:68 offset1:193
	v_add_nc_u32_e32 v61, 0x1400, v52
	v_add_nc_u32_e32 v57, 0x3c00, v52
	;; [unrolled: 1-line block ×5, first 2 shown]
	s_wait_dscnt 0x1
	v_dual_add_f32 v4, v0, v6 :: v_dual_add_nc_u32 v77, 0x3aa4, v5
	s_wait_dscnt 0x0
	v_sub_f32_e32 v118, v8, v12
	v_add_f32_e32 v108, v6, v10
	v_add_f32_e32 v110, v1, v7
	v_sub_f32_e32 v112, v6, v10
	ds_load_2addr_b64 v[14:17], v56 offset0:122 offset1:247
	ds_load_2addr_b64 v[18:21], v59 offset0:92 offset1:217
	;; [unrolled: 1-line block ×12, first 2 shown]
	v_add_nc_u32_e32 v67, 0x177, v48
	v_dual_add_f32 v114, v8, v12 :: v_dual_add_nc_u32 v101, 0x5dc0, v5
	v_add_f32_e32 v117, v9, v13
	v_add_nc_u32_e32 v79, 0x4654, v5
	v_add_f32_e32 v113, v2, v8
	v_add_nc_u32_e32 v103, 0x6984, v5
	v_sub_f32_e32 v109, v7, v11
	v_add_f32_e32 v111, v7, v11
	s_wait_dscnt 0xa
	v_add_f32_e32 v122, v15, v19
	s_wait_dscnt 0x9
	v_add_f32_e32 v120, v18, v22
	v_dual_add_f32 v124, v20, v24 :: v_dual_sub_f32 v121, v19, v23
	v_add_f32_e32 v19, v19, v23
	v_sub_f32_e32 v125, v21, v25
	v_add_f32_e32 v126, v17, v21
	s_wait_dscnt 0x3
	v_dual_add_f32 v140, v44, v86 :: v_dual_add_f32 v21, v21, v25
	v_and_b32_e32 v78, 0xffff, v67
	v_dual_add_f32 v130, v27, v31 :: v_dual_lshlrev_b32 v107, 5, v81
	v_dual_add_f32 v119, v14, v18 :: v_dual_add_f32 v134, v29, v33
	v_dual_sub_f32 v123, v18, v22 :: v_dual_add_f32 v138, v39, v43
	v_add_f32_e32 v18, v16, v20
	v_dual_add_f32 v128, v30, v34 :: v_dual_sub_f32 v129, v31, v35
	s_wait_dscnt 0x0
	v_dual_add_f32 v144, v92, v96 :: v_dual_add_f32 v31, v31, v35
	v_add_f32_e32 v146, v89, v93
	v_dual_sub_f32 v115, v9, v13 :: v_dual_add_f32 v132, v32, v36
	v_dual_add_f32 v116, v3, v9 :: v_dual_sub_f32 v127, v20, v24
	v_sub_f32_e32 v142, v45, v87
	v_add_f32_e32 v20, v26, v30
	v_dual_sub_f32 v131, v30, v34 :: v_dual_add_f32 v30, v28, v32
	v_dual_sub_f32 v133, v33, v37 :: v_dual_add_f32 v148, v94, v98
	v_dual_add_f32 v33, v33, v37 :: v_dual_add_f32 v150, v91, v95
	v_dual_sub_f32 v135, v32, v36 :: v_dual_add_f32 v32, v38, v42
	v_dual_add_f32 v136, v42, v84 :: v_dual_sub_f32 v137, v43, v85
	v_dual_add_f32 v6, v4, v10 :: v_dual_add_f32 v43, v43, v85
	v_add_f32_e32 v8, v113, v12
	v_dual_add_f32 v139, v40, v44 :: v_dual_add_f32 v10, v119, v22
	v_dual_add_f32 v141, v41, v45 :: v_dual_add_f32 v12, v18, v24
	;; [unrolled: 1-line block ×3, first 2 shown]
	v_dual_sub_f32 v145, v93, v97 :: v_dual_add_f32 v4, v30, v36
	s_delay_alu instid0(VALU_DEP_4)
	v_dual_add_f32 v93, v93, v97 :: v_dual_add_f32 v22, v139, v86
	v_fma_f32 v2, -0.5, v114, v2
	v_fma_f32 v14, -0.5, v120, v14
	v_sub_f32_e32 v149, v95, v99
	v_fma_f32 v16, -0.5, v124, v16
	v_add_f32_e32 v95, v95, v99
	v_fma_f32 v0, -0.5, v108, v0
	v_dual_fmac_f32 v3, -0.5, v117 :: v_dual_sub_f32 v42, v42, v84
	v_fma_f32 v15, -0.5, v19, v15
	v_dual_sub_f32 v44, v44, v86 :: v_dual_fmac_f32 v17, -0.5, v21
	v_fma_f32 v18, -0.5, v128, v26
	v_fma_f32 v19, -0.5, v31, v27
	v_add_f32_e32 v143, v88, v92
	v_dual_sub_f32 v92, v92, v96 :: v_dual_add_f32 v147, v90, v94
	v_add_f32_e32 v84, v32, v84
	v_sub_f32_e32 v94, v94, v98
	v_add_f32_e32 v7, v110, v11
	s_delay_alu instid0(VALU_DEP_4)
	v_dual_add_f32 v9, v116, v13 :: v_dual_add_f32 v86, v147, v98
	v_dual_add_f32 v11, v122, v23 :: v_dual_fmamk_f32 v30, v115, 0x3f5db3d7, v2
	v_fma_f32 v1, -0.5, v111, v1
	v_fma_f32 v40, -0.5, v140, v40
	v_fmac_f32_e32 v29, -0.5, v33
	v_fma_f32 v26, -0.5, v144, v88
	v_fmac_f32_e32 v41, -0.5, v45
	v_fma_f32 v27, -0.5, v93, v89
	v_fma_f32 v28, -0.5, v132, v28
	;; [unrolled: 1-line block ×5, first 2 shown]
	v_dual_fmamk_f32 v34, v125, 0x3f5db3d7, v16 :: v_dual_fmac_f32 v91, -0.5, v95
	v_fmamk_f32 v38, v109, 0x3f5db3d7, v0
	v_fmamk_f32 v31, v118, 0xbf5db3d7, v3
	;; [unrolled: 1-line block ×4, first 2 shown]
	v_dual_add_f32 v13, v126, v25 :: v_dual_fmamk_f32 v36, v129, 0x3f5db3d7, v18
	v_dual_add_f32 v21, v130, v35 :: v_dual_fmac_f32 v0, 0xbf5db3d7, v109
	v_dual_fmac_f32 v2, 0xbf5db3d7, v115 :: v_dual_fmamk_f32 v35, v127, 0xbf5db3d7, v17
	v_dual_add_f32 v110, v134, v37 :: v_dual_fmamk_f32 v37, v131, 0xbf5db3d7, v19
	global_wb scope:SCOPE_SE
	s_barrier_signal -1
	s_barrier_wait -1
	global_inv scope:SCOPE_SE
	v_dual_add_f32 v23, v141, v87 :: v_dual_fmac_f32 v14, 0xbf5db3d7, v121
	v_dual_add_f32 v85, v138, v85 :: v_dual_add_f32 v24, v143, v96
	v_dual_fmamk_f32 v96, v137, 0x3f5db3d7, v88 :: v_dual_add_f32 v25, v146, v97
	v_dual_add_f32 v87, v150, v99 :: v_dual_fmac_f32 v16, 0xbf5db3d7, v125
	v_fmamk_f32 v39, v112, 0xbf5db3d7, v1
	v_fmac_f32_e32 v1, 0x3f5db3d7, v112
	v_fmac_f32_e32 v3, 0x3f5db3d7, v118
	v_fmac_f32_e32 v15, 0x3f5db3d7, v123
	v_fmac_f32_e32 v17, 0x3f5db3d7, v127
	v_fmac_f32_e32 v18, 0xbf5db3d7, v129
	v_fmac_f32_e32 v19, 0x3f5db3d7, v131
	v_fmamk_f32 v93, v133, 0x3f5db3d7, v28
	v_fmac_f32_e32 v28, 0xbf5db3d7, v133
	v_dual_fmac_f32 v88, 0xbf5db3d7, v137 :: v_dual_fmamk_f32 v97, v42, 0xbf5db3d7, v89
	v_dual_fmac_f32 v89, 0x3f5db3d7, v42 :: v_dual_fmamk_f32 v42, v142, 0x3f5db3d7, v40
	v_fmamk_f32 v95, v135, 0xbf5db3d7, v29
	v_fmac_f32_e32 v29, 0x3f5db3d7, v135
	v_dual_fmac_f32 v40, 0xbf5db3d7, v142 :: v_dual_fmamk_f32 v43, v44, 0xbf5db3d7, v41
	v_dual_fmac_f32 v41, 0x3f5db3d7, v44 :: v_dual_fmamk_f32 v44, v145, 0x3f5db3d7, v26
	;; [unrolled: 1-line block ×4, first 2 shown]
	v_fmac_f32_e32 v90, 0xbf5db3d7, v149
	v_fmamk_f32 v98, v94, 0xbf5db3d7, v91
	v_fmac_f32_e32 v91, 0x3f5db3d7, v94
	ds_store_2addr_b64 v46, v[8:9], v[30:31] offset1:1
	ds_store_2addr_b64 v47, v[10:11], v[32:33] offset1:1
	;; [unrolled: 1-line block ×4, first 2 shown]
	ds_store_b32 v5, v4 offset:15000
	ds_store_2addr_b64 v5, v[6:7], v[38:39] offset1:1
	ds_store_b64 v5, v[0:1] offset:16
	ds_store_b64 v5, v[2:3] offset:3016
	;; [unrolled: 1-line block ×5, first 2 shown]
	ds_store_2addr_b32 v76, v110, v93 offset1:1
	ds_store_2addr_b32 v77, v95, v28 offset1:1
	ds_store_b32 v5, v29 offset:15020
	ds_store_b32 v5, v84 offset:18000
	ds_store_2addr_b32 v79, v85, v96 offset1:1
	ds_store_2addr_b32 v80, v97, v88 offset1:1
	ds_store_b32 v5, v89 offset:18020
	ds_store_b64 v5, v[40:41] offset:21016
	ds_store_2addr_b64 v100, v[22:23], v[42:43] offset1:1
	ds_store_2addr_b64 v101, v[24:25], v[44:45] offset1:1
	ds_store_b64 v5, v[26:27] offset:24016
	ds_store_b32 v5, v86 offset:27000
	ds_store_2addr_b32 v103, v98, v90 offset1:1
	ds_store_2addr_b32 v102, v87, v92 offset1:1
	ds_store_b32 v5, v91 offset:27020
	v_add_nc_u32_e32 v69, 0x1f4, v48
	global_wb scope:SCOPE_SE
	s_wait_dscnt 0x0
	s_barrier_signal -1
	s_barrier_wait -1
	global_inv scope:SCOPE_SE
	s_clause 0x1
	global_load_b128 v[4:7], v107, s[4:5]
	global_load_b128 v[12:15], v106, s[4:5] offset:16
	v_and_b32_e32 v77, 0xffff, v69
	global_load_b128 v[0:3], v106, s[4:5]
	v_add_nc_u32_e32 v70, 0x271, v48
	v_mul_u32_u24_e32 v104, 0xaaab, v78
	v_sub_nc_u16 v8, v68, v105
	v_mul_u32_u24_e32 v17, 0xaaab, v77
	v_mul_lo_u16 v73, 0x89, v73
	v_and_b32_e32 v76, 0xffff, v70
	v_lshrrev_b32_e32 v84, 17, v104
	v_and_b32_e32 v85, 0xffff, v8
	v_lshrrev_b32_e32 v87, 17, v17
	v_lshrrev_b16 v73, 11, v73
	v_mul_u32_u24_e32 v20, 0xaaab, v76
	v_mul_lo_u16 v9, v84, 3
	v_lshlrev_b32_e32 v24, 5, v85
	v_mul_lo_u16 v25, v87, 3
	v_mul_lo_u16 v79, 0x89, v71
	v_lshrrev_b32_e32 v90, 17, v20
	v_sub_nc_u16 v16, v67, v9
	global_load_b128 v[8:11], v107, s[4:5] offset:16
	v_sub_nc_u16 v29, v69, v25
	v_mul_u32_u24_e32 v93, 0x78, v82
	v_mul_lo_u16 v30, v90, 3
	v_mul_u32_u24_e32 v84, 0x78, v84
	v_mul_u32_u24_e32 v87, 0x78, v87
	v_and_b32_e32 v88, 0xffff, v29
	v_lshlrev_b32_e32 v85, 3, v85
	v_sub_nc_u16 v32, v70, v30
	v_mul_u32_u24_e32 v80, 0x8889, v72
	v_mul_u32_u24_e32 v91, 0x8889, v78
	v_lshlrev_b32_e32 v40, 5, v88
	v_lshlrev_b32_e32 v88, 3, v88
	v_and_b32_e32 v89, 0xffff, v32
	v_and_b32_e32 v75, 0xffff, v75
	v_mul_lo_u16 v92, v73, 15
	global_load_b128 v[32:35], v40, s[4:5]
	v_and_b32_e32 v86, 0xffff, v16
	global_load_b128 v[16:19], v24, s[4:5]
	v_lshlrev_b32_e32 v44, 5, v89
	v_lshrrev_b16 v79, 11, v79
	v_add3_u32 v147, 0, v93, v85
	v_lshlrev_b32_e32 v28, 5, v86
	v_lshlrev_b32_e32 v86, 3, v86
	v_add3_u32 v149, 0, v87, v88
	v_lshrrev_b32_e32 v78, 19, v80
	v_lshrrev_b32_e32 v80, 19, v91
	s_clause 0x5
	global_load_b128 v[20:23], v28, s[4:5]
	global_load_b128 v[24:27], v24, s[4:5] offset:16
	global_load_b128 v[28:31], v28, s[4:5] offset:16
	global_load_b128 v[36:39], v44, s[4:5]
	global_load_b128 v[40:43], v40, s[4:5] offset:16
	global_load_b128 v[44:47], v44, s[4:5] offset:16
	v_add3_u32 v148, 0, v84, v86
	ds_load_2addr_b64 v[84:87], v61 offset0:110 offset1:235
	v_mul_u32_u24_e32 v91, 0x78, v75
	v_and_b32_e32 v75, 0xffff, v74
	v_mul_lo_u16 v74, v79, 15
	v_sub_nc_u16 v82, v48, v92
	v_mul_u32_u24_e32 v90, 0x78, v90
	v_lshlrev_b32_e32 v81, 3, v81
	v_mul_u32_u24_e32 v94, 0x78, v75
	v_sub_nc_u16 v92, v66, v74
	v_and_b32_e32 v74, 0xff, v82
	v_lshlrev_b32_e32 v82, 3, v83
	v_lshlrev_b32_e32 v89, 3, v89
	v_add3_u32 v81, 0, v94, v81
	v_and_b32_e32 v75, 0xff, v92
	v_mul_lo_u16 v144, v78, 15
	v_add3_u32 v146, 0, v91, v82
	v_add3_u32 v150, 0, v90, v89
	ds_load_2addr_b64 v[88:91], v59 offset0:92 offset1:217
	ds_load_2addr_b64 v[92:95], v65 offset0:74 offset1:199
	;; [unrolled: 1-line block ×11, first 2 shown]
	ds_load_2addr_b64 v[132:135], v52 offset1:125
	ds_load_2addr_b64 v[136:139], v56 offset0:122 offset1:247
	ds_load_2addr_b64 v[140:143], v55 offset0:116 offset1:241
	global_wb scope:SCOPE_SE
	s_wait_loadcnt_dscnt 0x0
	s_barrier_signal -1
	s_barrier_wait -1
	global_inv scope:SCOPE_SE
	v_mul_lo_u16 v145, v80, 15
	v_and_b32_e32 v73, 0xffff, v73
	v_and_b32_e32 v79, 0xffff, v79
	v_mul_u32_u24_e32 v80, 0x258, v80
	v_mul_u32_u24_e32 v78, 0x258, v78
	s_delay_alu instid0(VALU_DEP_3)
	v_mul_u32_u24_e32 v79, 0x258, v79
	v_mul_f32_e32 v153, v87, v5
	v_dual_mul_f32 v5, v86, v5 :: v_dual_mul_f32 v154, v91, v7
	v_mul_f32_e32 v151, v1, v85
	v_mul_f32_e32 v1, v1, v84
	;; [unrolled: 1-line block ×6, first 2 shown]
	v_dual_mul_f32 v156, v92, v13 :: v_dual_mul_f32 v13, v97, v15
	v_mul_f32_e32 v157, v96, v15
	v_fmac_f32_e32 v1, v0, v85
	v_fmac_f32_e32 v7, v91, v6
	v_fma_f32 v91, v92, v12, -v155
	v_fma_f32 v92, v96, v14, -v13
	v_fmac_f32_e32 v3, v89, v2
	v_fmac_f32_e32 v5, v87, v4
	v_fma_f32 v87, v90, v6, -v154
	v_dual_fmac_f32 v156, v93, v12 :: v_dual_lshlrev_b32 v83, 5, v74
	v_mul_f32_e32 v158, v94, v9
	v_lshlrev_b32_e32 v74, 3, v74
	s_delay_alu instid0(VALU_DEP_2)
	v_dual_fmac_f32 v158, v95, v8 :: v_dual_mul_f32 v13, v117, v33
	v_mul_f32_e32 v6, v107, v23
	v_dual_mul_f32 v90, v112, v27 :: v_dual_mul_f32 v15, v95, v9
	v_fma_f32 v9, v0, v84, -v151
	v_fma_f32 v0, v88, v2, -v152
	v_mul_f32_e32 v2, v99, v11
	s_delay_alu instid0(VALU_DEP_4)
	v_fmac_f32_e32 v90, v113, v26
	v_dual_mul_f32 v84, v98, v11 :: v_dual_mul_f32 v11, v101, v17
	v_mul_f32_e32 v85, v100, v17
	v_fma_f32 v17, v86, v4, -v153
	v_mul_f32_e32 v4, v105, v19
	v_mul_f32_e32 v12, v115, v31
	v_mul_f32_e32 v93, v114, v31
	v_mul_f32_e32 v31, v116, v33
	v_fma_f32 v33, v94, v8, -v15
	v_fma_f32 v94, v98, v10, -v2
	v_mul_f32_e32 v98, v130, v47
	v_fmac_f32_e32 v84, v99, v10
	v_mul_f32_e32 v10, v125, v41
	v_fmac_f32_e32 v157, v97, v14
	v_fma_f32 v97, v104, v18, -v4
	v_mul_f32_e32 v4, v131, v47
	v_dual_fmac_f32 v98, v131, v46 :: v_dual_mul_f32 v89, v113, v27
	v_mul_f32_e32 v86, v103, v21
	v_mul_f32_e32 v21, v102, v21
	v_dual_mul_f32 v23, v106, v23 :: v_dual_mul_f32 v88, v109, v25
	v_mul_f32_e32 v25, v108, v25
	v_dual_mul_f32 v27, v111, v29 :: v_dual_mul_f32 v8, v121, v35
	v_mul_f32_e32 v41, v124, v41
	v_mul_f32_e32 v15, v129, v43
	v_fma_f32 v47, v112, v26, -v89
	v_fma_f32 v26, v116, v32, -v13
	v_fmac_f32_e32 v31, v117, v32
	v_fma_f32 v32, v124, v40, -v10
	v_fma_f32 v89, v130, v46, -v4
	v_sub_f32_e32 v4, v92, v91
	v_mul_f32_e32 v19, v104, v19
	v_sub_f32_e32 v10, v1, v3
	v_dual_mul_f32 v95, v128, v43 :: v_dual_add_f32 v112, v5, v84
	v_dual_mul_f32 v35, v120, v35 :: v_dual_add_f32 v104, v135, v5
	v_mul_f32_e32 v14, v119, v37
	v_dual_mul_f32 v37, v118, v37 :: v_dual_mul_f32 v2, v123, v39
	v_fmac_f32_e32 v41, v125, v40
	v_sub_f32_e32 v40, v17, v87
	v_fmac_f32_e32 v25, v109, v24
	v_fmac_f32_e32 v19, v105, v18
	v_fma_f32 v18, v102, v20, -v86
	v_fmac_f32_e32 v21, v103, v20
	v_fma_f32 v20, v106, v22, -v6
	;; [unrolled: 2-line block ×3, first 2 shown]
	v_mul_f32_e32 v43, v127, v45
	v_fma_f32 v86, v114, v30, -v12
	v_add_f32_e32 v6, v0, v91
	v_fma_f32 v96, v100, v16, -v11
	v_dual_add_f32 v114, v97, v22 :: v_dual_mul_f32 v45, v126, v45
	v_add_f32_e32 v12, v132, v9
	v_dual_mul_f32 v29, v110, v29 :: v_dual_sub_f32 v102, v0, v91
	v_fma_f32 v24, v110, v28, -v27
	v_fma_f32 v27, v120, v34, -v8
	v_sub_f32_e32 v108, v87, v33
	v_fma_f32 v88, v128, v42, -v15
	v_dual_fmac_f32 v95, v129, v42 :: v_dual_sub_f32 v42, v94, v33
	v_mul_f32_e32 v39, v122, v39
	v_dual_fmac_f32 v35, v121, v34 :: v_dual_add_f32 v162, v27, v32
	v_fma_f32 v34, v126, v44, -v43
	v_add_f32_e32 v8, v3, v156
	s_delay_alu instid0(VALU_DEP_4)
	v_dual_fmac_f32 v39, v123, v38 :: v_dual_add_f32 v166, v12, v0
	v_dual_add_f32 v13, v133, v1 :: v_dual_add_f32 v168, v26, v88
	v_sub_f32_e32 v100, v9, v92
	v_sub_f32_e32 v46, v5, v7
	;; [unrolled: 1-line block ×4, first 2 shown]
	v_dual_fmac_f32 v45, v127, v44 :: v_dual_add_f32 v104, v104, v7
	v_add_f32_e32 v44, v7, v158
	v_dual_fmac_f32 v29, v111, v28 :: v_dual_sub_f32 v130, v20, v18
	v_fma_f32 v28, v118, v36, -v14
	v_dual_fmac_f32 v37, v119, v36 :: v_dual_sub_f32 v14, v0, v9
	v_dual_add_f32 v36, v1, v157 :: v_dual_sub_f32 v103, v84, v158
	v_sub_f32_e32 v124, v90, v25
	v_add_f32_e32 v126, v138, v18
	v_dual_add_f32 v128, v20, v24 :: v_dual_fmac_f32 v93, v115, v30
	v_sub_f32_e32 v154, v21, v23
	v_fma_f32 v30, v122, v38, -v2
	v_sub_f32_e32 v2, v9, v0
	v_dual_fmac_f32 v85, v101, v16 :: v_dual_add_f32 v120, v19, v25
	v_sub_f32_e32 v99, v1, v157
	v_sub_f32_e32 v16, v3, v1
	s_delay_alu instid0(VALU_DEP_4)
	v_add_f32_e32 v170, v2, v4
	v_dual_sub_f32 v38, v156, v157 :: v_dual_sub_f32 v15, v91, v92
	v_dual_add_f32 v1, v134, v17 :: v_dual_sub_f32 v164, v27, v26
	v_sub_f32_e32 v12, v32, v88
	v_add_f32_e32 v9, v9, v92
	v_dual_add_f32 v43, v87, v33 :: v_dual_sub_f32 v110, v33, v94
	v_sub_f32_e32 v113, v158, v84
	v_dual_sub_f32 v118, v22, v47 :: v_dual_sub_f32 v109, v87, v17
	v_add_f32_e32 v152, v18, v86
	v_sub_f32_e32 v160, v93, v29
	v_sub_f32_e32 v111, v7, v5
	v_add_f32_e32 v167, v13, v3
	v_fma_f32 v0, -0.5, v6, v132
	v_fma_f32 v2, -0.5, v9, v132
	v_dual_add_f32 v132, v16, v38 :: v_dual_sub_f32 v11, v157, v156
	v_dual_add_f32 v174, v14, v15 :: v_dual_sub_f32 v101, v3, v156
	v_fma_f32 v3, -0.5, v36, v133
	v_sub_f32_e32 v38, v28, v30
	s_delay_alu instid0(VALU_DEP_4)
	v_add_f32_e32 v172, v10, v11
	v_add_f32_e32 v87, v1, v87
	v_fma_f32 v1, -0.5, v8, v133
	v_dual_add_f32 v133, v40, v42 :: v_dual_add_f32 v42, v142, v28
	v_add_f32_e32 v103, v46, v103
	v_fma_f32 v6, -0.5, v114, v136
	v_add_f32_e32 v46, v39, v45
	v_sub_f32_e32 v114, v37, v39
	v_add_f32_e32 v17, v17, v94
	v_dual_sub_f32 v105, v5, v84 :: v_dual_add_f32 v36, v30, v34
	v_dual_sub_f32 v107, v7, v158 :: v_dual_add_f32 v40, v28, v89
	v_sub_f32_e32 v115, v96, v97
	v_sub_f32_e32 v117, v47, v22
	v_dual_sub_f32 v121, v85, v19 :: v_dual_sub_f32 v122, v19, v85
	v_sub_f32_e32 v125, v25, v90
	v_sub_f32_e32 v171, v35, v31
	;; [unrolled: 1-line block ×3, first 2 shown]
	v_fma_f32 v4, -0.5, v43, v134
	v_fma_f32 v5, -0.5, v44, v135
	v_dual_fmac_f32 v135, -0.5, v112 :: v_dual_add_f32 v112, v116, v118
	v_fma_f32 v7, -0.5, v120, v137
	v_dual_add_f32 v120, v143, v37 :: v_dual_add_f32 v109, v109, v110
	v_add_f32_e32 v110, v111, v113
	v_fma_f32 v134, -0.5, v17, v134
	v_sub_f32_e32 v17, v89, v34
	v_dual_add_f32 v119, v96, v47 :: v_dual_sub_f32 v116, v98, v45
	v_add_f32_e32 v123, v85, v90
	v_add_f32_e32 v127, v139, v21
	v_sub_f32_e32 v129, v18, v20
	v_sub_f32_e32 v131, v86, v24
	;; [unrolled: 1-line block ×3, first 2 shown]
	v_add_f32_e32 v153, v23, v29
	v_sub_f32_e32 v155, v23, v21
	v_dual_sub_f32 v161, v29, v93 :: v_dual_add_f32 v114, v114, v116
	v_dual_sub_f32 v165, v88, v32 :: v_dual_sub_f32 v44, v34, v89
	v_add_f32_e32 v113, v121, v124
	v_fma_f32 v10, -0.5, v128, v138
	v_fma_f32 v138, -0.5, v152, v138
	v_dual_add_f32 v118, v37, v98 :: v_dual_add_f32 v111, v115, v117
	v_dual_add_f32 v124, v136, v96 :: v_dual_add_f32 v115, v122, v125
	v_add_f32_e32 v122, v154, v160
	v_add_f32_e32 v152, v171, v16
	;; [unrolled: 1-line block ×3, first 2 shown]
	v_fma_f32 v16, -0.5, v36, v142
	v_add_f32_e32 v36, v140, v26
	v_add_f32_e32 v38, v141, v31
	v_dual_sub_f32 v163, v26, v27 :: v_dual_sub_f32 v116, v35, v41
	v_dual_add_f32 v13, v35, v41 :: v_dual_sub_f32 v96, v96, v47
	v_dual_sub_f32 v169, v31, v35 :: v_dual_sub_f32 v160, v21, v93
	v_add_f32_e32 v173, v31, v95
	v_dual_sub_f32 v14, v95, v41 :: v_dual_sub_f32 v43, v30, v28
	v_add_f32_e32 v159, v21, v93
	v_fma_f32 v8, -0.5, v119, v136
	v_add_f32_e32 v119, v130, v151
	v_fma_f32 v11, -0.5, v153, v139
	v_dual_add_f32 v125, v155, v161 :: v_dual_sub_f32 v128, v97, v22
	v_add_f32_e32 v130, v137, v85
	v_dual_sub_f32 v136, v19, v25 :: v_dual_add_f32 v117, v129, v131
	v_add_f32_e32 v131, v164, v12
	v_fma_f32 v12, -0.5, v162, v140
	v_sub_f32_e32 v153, v23, v29
	v_sub_f32_e32 v155, v27, v32
	v_dual_sub_f32 v162, v31, v95 :: v_dual_sub_f32 v161, v26, v88
	v_sub_f32_e32 v164, v37, v98
	v_add_f32_e32 v26, v38, v35
	v_add_f32_e32 v38, v166, v91
	v_add_f32_e32 v21, v127, v23
	v_add_f32_e32 v23, v36, v27
	v_add_f32_e32 v27, v42, v30
	v_fma_f32 v9, -0.5, v123, v137
	v_fma_f32 v13, -0.5, v13, v141
	v_add_f32_e32 v137, v169, v14
	v_fma_f32 v14, -0.5, v168, v140
	v_sub_f32_e32 v151, v20, v24
	v_fma_f32 v142, -0.5, v40, v142
	v_add_f32_e32 v20, v126, v20
	v_fma_f32 v15, -0.5, v173, v141
	v_sub_f32_e32 v141, v85, v90
	v_add_f32_e32 v129, v163, v165
	v_sub_f32_e32 v163, v28, v89
	v_add_f32_e32 v28, v120, v39
	v_fmamk_f32 v40, v164, 0x3f737871, v16
	v_add_f32_e32 v120, v27, v34
	v_dual_add_f32 v140, v43, v44 :: v_dual_fmac_f32 v139, -0.5, v159
	v_dual_sub_f32 v159, v18, v86 :: v_dual_fmamk_f32 v36, v116, 0xbf737871, v14
	v_add_f32_e32 v18, v124, v97
	v_sub_f32_e32 v121, v39, v37
	v_sub_f32_e32 v123, v45, v98
	v_fma_f32 v17, -0.5, v46, v143
	v_dual_add_f32 v19, v130, v19 :: v_dual_fmac_f32 v14, 0x3f737871, v116
	v_add_f32_e32 v46, v18, v22
	v_dual_fmamk_f32 v18, v101, 0xbf737871, v2 :: v_dual_fmac_f32 v143, -0.5, v118
	v_sub_f32_e32 v118, v30, v34
	v_dual_add_f32 v42, v87, v33 :: v_dual_add_f32 v87, v20, v24
	s_delay_alu instid0(VALU_DEP_4)
	v_add_f32_e32 v46, v46, v47
	v_add_f32_e32 v124, v28, v45
	v_fmamk_f32 v20, v99, 0x3f737871, v0
	v_fmac_f32_e32 v0, 0xbf737871, v99
	v_dual_add_f32 v121, v121, v123 :: v_dual_fmamk_f32 v28, v136, 0xbf737871, v8
	v_dual_sub_f32 v123, v39, v45 :: v_dual_add_f32 v38, v38, v92
	v_add_f32_e32 v91, v21, v29
	v_dual_fmamk_f32 v21, v100, 0xbf737871, v1 :: v_dual_fmac_f32 v16, 0xbf737871, v164
	v_dual_add_f32 v97, v23, v32 :: v_dual_fmac_f32 v18, 0x3f167918, v99
	v_dual_fmamk_f32 v32, v153, 0xbf737871, v138 :: v_dual_add_f32 v43, v104, v158
	v_fmamk_f32 v44, v123, 0xbf737871, v142
	v_dual_add_f32 v39, v167, v156 :: v_dual_add_f32 v42, v42, v94
	v_dual_add_f32 v85, v19, v25 :: v_dual_fmac_f32 v142, 0x3f737871, v123
	v_dual_fmac_f32 v2, 0x3f737871, v101 :: v_dual_fmamk_f32 v19, v102, 0x3f737871, v3
	v_fmac_f32_e32 v3, 0xbf737871, v102
	v_dual_fmac_f32 v1, 0x3f737871, v100 :: v_dual_fmamk_f32 v22, v105, 0x3f737871, v4
	v_dual_fmamk_f32 v23, v106, 0xbf737871, v5 :: v_dual_fmamk_f32 v24, v107, 0xbf737871, v134
	v_dual_fmac_f32 v134, 0x3f737871, v107 :: v_dual_fmamk_f32 v25, v108, 0x3f737871, v135
	v_fmac_f32_e32 v135, 0xbf737871, v108
	v_fmac_f32_e32 v8, 0x3f737871, v136
	v_fmamk_f32 v27, v96, 0xbf737871, v7
	v_fmamk_f32 v34, v162, 0x3f737871, v12
	v_dual_fmac_f32 v12, 0xbf737871, v162 :: v_dual_fmamk_f32 v35, v161, 0xbf737871, v13
	v_fmac_f32_e32 v13, 0x3f737871, v161
	v_add_f32_e32 v104, v26, v41
	v_fmac_f32_e32 v4, 0xbf737871, v105
	v_fmac_f32_e32 v5, 0x3f737871, v106
	;; [unrolled: 1-line block ×3, first 2 shown]
	v_fmamk_f32 v29, v128, 0x3f737871, v9
	v_fmac_f32_e32 v9, 0xbf737871, v128
	v_fmamk_f32 v30, v160, 0x3f737871, v10
	v_fmac_f32_e32 v10, 0xbf737871, v160
	v_fmac_f32_e32 v138, 0x3f737871, v153
	v_fmamk_f32 v26, v141, 0x3f737871, v6
	v_dual_fmac_f32 v6, 0xbf737871, v141 :: v_dual_fmamk_f32 v31, v159, 0xbf737871, v11
	v_fmac_f32_e32 v11, 0x3f737871, v159
	v_fmamk_f32 v33, v151, 0x3f737871, v139
	v_fmac_f32_e32 v139, 0xbf737871, v151
	v_fmamk_f32 v37, v155, 0x3f737871, v15
	v_fmac_f32_e32 v15, 0xbf737871, v155
	v_dual_add_f32 v43, v43, v84 :: v_dual_fmac_f32 v20, 0x3f167918, v101
	v_fmamk_f32 v41, v163, 0xbf737871, v17
	v_fmac_f32_e32 v17, 0x3f737871, v163
	v_fmamk_f32 v45, v118, 0x3f737871, v143
	v_fmac_f32_e32 v143, 0xbf737871, v118
	v_dual_fmac_f32 v21, 0xbf167918, v102 :: v_dual_fmac_f32 v134, 0xbf167918, v105
	v_dual_add_f32 v39, v39, v157 :: v_dual_fmac_f32 v2, 0xbf167918, v99
	v_add_f32_e32 v84, v87, v86
	v_add_f32_e32 v86, v97, v88
	v_dual_fmac_f32 v19, 0xbf167918, v100 :: v_dual_fmac_f32 v4, 0xbf167918, v107
	v_dual_add_f32 v88, v120, v89 :: v_dual_fmac_f32 v3, 0x3f167918, v100
	v_dual_fmac_f32 v24, 0x3f167918, v105 :: v_dual_add_f32 v47, v85, v90
	v_fmac_f32_e32 v0, 0xbf167918, v101
	v_dual_fmac_f32 v1, 0x3f167918, v102 :: v_dual_fmac_f32 v26, 0x3f167918, v136
	v_dual_add_f32 v85, v91, v93 :: v_dual_fmac_f32 v22, 0x3f167918, v107
	v_dual_fmac_f32 v23, 0xbf167918, v108 :: v_dual_fmac_f32 v8, 0xbf167918, v141
	v_dual_fmac_f32 v25, 0xbf167918, v106 :: v_dual_fmac_f32 v10, 0xbf167918, v153
	;; [unrolled: 1-line block ×4, first 2 shown]
	v_fmac_f32_e32 v13, 0x3f167918, v155
	v_dual_add_f32 v87, v104, v95 :: v_dual_fmac_f32 v6, 0xbf167918, v136
	v_dual_add_f32 v89, v124, v98 :: v_dual_fmac_f32 v28, 0x3f167918, v141
	v_dual_fmac_f32 v5, 0x3f167918, v108 :: v_dual_fmac_f32 v30, 0x3f167918, v153
	v_dual_fmac_f32 v7, 0x3f167918, v128 :: v_dual_fmac_f32 v36, 0x3f167918, v162
	;; [unrolled: 1-line block ×9, first 2 shown]
	v_fmac_f32_e32 v37, 0xbf167918, v161
	v_fmac_f32_e32 v15, 0x3f167918, v161
	;; [unrolled: 1-line block ×6, first 2 shown]
	v_dual_fmac_f32 v20, 0x3e9e377a, v170 :: v_dual_fmac_f32 v21, 0x3e9e377a, v172
	v_dual_fmac_f32 v18, 0x3e9e377a, v174 :: v_dual_fmac_f32 v19, 0x3e9e377a, v132
	;; [unrolled: 1-line block ×24, first 2 shown]
	ds_store_2addr_b64 v146, v[38:39], v[20:21] offset1:3
	ds_store_2addr_b64 v146, v[18:19], v[2:3] offset0:6 offset1:9
	ds_store_b64 v146, v[0:1] offset:96
	ds_store_2addr_b64 v81, v[42:43], v[22:23] offset1:3
	ds_store_2addr_b64 v81, v[24:25], v[134:135] offset0:6 offset1:9
	ds_store_b64 v81, v[4:5] offset:96
	;; [unrolled: 3-line block ×6, first 2 shown]
	v_sub_nc_u16 v8, v68, v144
	v_mul_u32_u24_e32 v13, 0x8889, v77
	v_mul_u32_u24_e32 v20, 0x8889, v76
	global_wb scope:SCOPE_SE
	s_wait_dscnt 0x0
	s_barrier_signal -1
	s_barrier_wait -1
	global_inv scope:SCOPE_SE
	global_load_b128 v[4:7], v83, s[4:5] offset:96
	v_and_b32_e32 v81, 0xffff, v8
	global_load_b128 v[8:11], v83, s[4:5] offset:112
	v_lshrrev_b32_e32 v83, 19, v13
	v_lshrrev_b32_e32 v84, 19, v20
	v_sub_nc_u16 v12, v67, v145
	v_lshlrev_b32_e32 v82, 5, v75
	v_lshlrev_b32_e32 v24, 5, v81
	v_mul_lo_u16 v25, v83, 15
	v_mul_lo_u16 v26, v84, 15
	v_and_b32_e32 v76, 0xffff, v12
	s_clause 0x1
	global_load_b128 v[0:3], v82, s[4:5] offset:96
	global_load_b128 v[16:19], v82, s[4:5] offset:112
	v_sub_nc_u16 v29, v69, v25
	v_sub_nc_u16 v30, v70, v26
	v_lshlrev_b32_e32 v28, 5, v76
	global_load_b128 v[12:15], v24, s[4:5] offset:96
	v_mul_u32_u24_e32 v86, 0xb4e9, v72
	v_and_b32_e32 v77, 0xffff, v29
	v_and_b32_e32 v82, 0xffff, v30
	s_clause 0x2
	global_load_b128 v[20:23], v28, s[4:5] offset:96
	global_load_b128 v[24:27], v24, s[4:5] offset:112
	;; [unrolled: 1-line block ×3, first 2 shown]
	v_lshlrev_b32_e32 v40, 5, v77
	v_lshlrev_b32_e32 v44, 5, v82
	s_clause 0x3
	global_load_b128 v[32:35], v40, s[4:5] offset:96
	global_load_b128 v[36:39], v44, s[4:5] offset:96
	;; [unrolled: 1-line block ×4, first 2 shown]
	v_mul_lo_u16 v85, 0xdb, v71
	v_lshrrev_b32_e32 v71, 16, v86
	v_mul_u32_u24_e32 v86, 0x258, v73
	v_lshlrev_b32_e32 v75, 3, v75
	v_lshlrev_b32_e32 v76, 3, v76
	;; [unrolled: 1-line block ×3, first 2 shown]
	v_mul_u32_u24_e32 v83, 0x258, v83
	v_add3_u32 v138, 0, v86, v74
	v_add3_u32 v139, 0, v79, v75
	;; [unrolled: 1-line block ×3, first 2 shown]
	ds_load_2addr_b64 v[74:77], v61 offset0:110 offset1:235
	v_lshlrev_b32_e32 v81, 3, v81
	v_add3_u32 v83, 0, v83, v87
	v_add_nc_u32_e32 v72, 0xffffffb5, v48
	v_mul_u32_u24_e32 v73, 0x258, v84
	v_sub_nc_u16 v84, v68, v71
	v_add3_u32 v140, 0, v78, v81
	ds_load_2addr_b64 v[78:81], v59 offset0:92 offset1:217
	ds_load_2addr_b64 v[86:89], v65 offset0:74 offset1:199
	;; [unrolled: 1-line block ×11, first 2 shown]
	ds_load_2addr_b64 v[126:129], v52 offset1:125
	ds_load_2addr_b64 v[130:133], v56 offset0:122 offset1:247
	ds_load_2addr_b64 v[134:137], v55 offset0:116 offset1:241
	global_wb scope:SCOPE_SE
	s_wait_loadcnt_dscnt 0x0
	s_barrier_signal -1
	s_barrier_wait -1
	global_inv scope:SCOPE_SE
	v_mul_f32_e32 v142, v5, v75
	v_mul_f32_e32 v143, v5, v74
	;; [unrolled: 1-line block ×5, first 2 shown]
	v_fma_f32 v74, v4, v74, -v142
	v_fmac_f32_e32 v143, v4, v75
	v_fma_f32 v75, v6, v78, -v5
	v_fmac_f32_e32 v144, v6, v79
	v_fmac_f32_e32 v148, v91, v10
	v_dual_mul_f32 v7, v77, v1 :: v_dual_lshlrev_b32 v82, 3, v82
	v_mul_f32_e32 v145, v76, v1
	v_mul_f32_e32 v146, v80, v3
	;; [unrolled: 1-line block ×4, first 2 shown]
	v_fma_f32 v76, v76, v0, -v7
	v_mul_f32_e32 v1, v81, v3
	v_fmac_f32_e32 v145, v77, v0
	v_dual_mul_f32 v153, v101, v23 :: v_dual_mul_f32 v4, v103, v25
	v_dual_mul_f32 v25, v102, v25 :: v_dual_mul_f32 v6, v109, v31
	v_dual_mul_f32 v78, v108, v31 :: v_dual_mul_f32 v31, v110, v33
	v_dual_mul_f32 v77, v106, v27 :: v_dual_mul_f32 v0, v105, v29
	v_fmac_f32_e32 v152, v99, v14
	s_delay_alu instid0(VALU_DEP_4)
	v_fmac_f32_e32 v25, v103, v24
	v_mul_f32_e32 v5, v107, v27
	v_fmac_f32_e32 v31, v111, v32
	v_mul_f32_e32 v27, v104, v29
	v_fma_f32 v29, v80, v2, -v1
	v_mul_f32_e32 v1, v111, v33
	v_mul_f32_e32 v33, v114, v35
	v_fmac_f32_e32 v77, v107, v26
	v_dual_mul_f32 v23, v100, v23 :: v_dual_fmac_f32 v146, v81, v2
	v_mul_f32_e32 v147, v9, v86
	s_delay_alu instid0(VALU_DEP_4) | instskip(SKIP_1) | instid1(VALU_DEP_4)
	v_fmac_f32_e32 v33, v115, v34
	v_mul_f32_e32 v151, v94, v13
	v_fmac_f32_e32 v23, v101, v22
	v_fmac_f32_e32 v150, v93, v18
	;; [unrolled: 1-line block ×3, first 2 shown]
	v_sub_f32_e32 v154, v33, v31
	v_fmac_f32_e32 v27, v105, v28
	v_mul_f32_e32 v149, v88, v17
	v_fmac_f32_e32 v151, v95, v12
	v_dual_mul_f32 v7, v113, v37 :: v_dual_mul_f32 v2, v115, v35
	s_delay_alu instid0(VALU_DEP_3) | instskip(SKIP_2) | instid1(VALU_DEP_2)
	v_fmac_f32_e32 v149, v89, v16
	v_mul_f32_e32 v3, v9, v87
	v_mul_f32_e32 v9, v91, v11
	v_fma_f32 v79, v8, v86, -v3
	s_delay_alu instid0(VALU_DEP_2) | instskip(SKIP_2) | instid1(VALU_DEP_2)
	v_fma_f32 v80, v90, v10, -v9
	v_dual_mul_f32 v10, v125, v47 :: v_dual_mul_f32 v3, v119, v41
	v_mul_f32_e32 v86, v122, v43
	v_fma_f32 v90, v124, v46, -v10
	s_delay_alu instid0(VALU_DEP_2) | instskip(NEXT) | instid1(VALU_DEP_1)
	v_dual_mul_f32 v41, v118, v41 :: v_dual_fmac_f32 v86, v123, v42
	v_fmac_f32_e32 v41, v119, v40
	v_fmac_f32_e32 v147, v8, v87
	v_mul_f32_e32 v87, v124, v47
	v_mul_f32_e32 v8, v123, v43
	v_fma_f32 v47, v106, v26, -v5
	v_mul_f32_e32 v11, v89, v17
	v_mul_f32_e32 v17, v93, v19
	;; [unrolled: 1-line block ×4, first 2 shown]
	v_fmac_f32_e32 v87, v125, v46
	v_mul_f32_e32 v43, v120, v45
	v_mul_f32_e32 v15, v97, v21
	;; [unrolled: 1-line block ×3, first 2 shown]
	v_fma_f32 v89, v122, v42, -v8
	s_delay_alu instid0(VALU_DEP_4)
	v_dual_sub_f32 v156, v86, v41 :: v_dual_fmac_f32 v43, v121, v44
	v_mul_f32_e32 v9, v121, v45
	v_fma_f32 v45, v92, v18, -v17
	v_fma_f32 v17, v94, v12, -v19
	;; [unrolled: 1-line block ×3, first 2 shown]
	v_sub_f32_e32 v170, v87, v43
	v_fma_f32 v19, v96, v20, -v15
	v_fmac_f32_e32 v21, v97, v20
	v_mul_f32_e32 v35, v112, v37
	v_sub_f32_e32 v96, v18, v17
	v_fma_f32 v20, v100, v22, -v153
	v_fma_f32 v22, v102, v24, -v4
	;; [unrolled: 1-line block ×4, first 2 shown]
	v_dual_add_f32 v142, v33, v41 :: v_dual_sub_f32 v5, v148, v147
	s_delay_alu instid0(VALU_DEP_4)
	v_sub_f32_e32 v98, v22, v47
	v_fma_f32 v81, v88, v16, -v11
	v_fma_f32 v88, v108, v30, -v6
	;; [unrolled: 1-line block ×3, first 2 shown]
	v_sub_f32_e32 v6, v75, v74
	v_add_f32_e32 v94, v18, v22
	v_sub_f32_e32 v16, v81, v45
	v_sub_f32_e32 v112, v24, v88
	v_add_f32_e32 v162, v136, v30
	v_fma_f32 v34, v118, v40, -v3
	v_mul_f32_e32 v37, v117, v39
	v_dual_mul_f32 v39, v116, v39 :: v_dual_sub_f32 v4, v143, v144
	v_add_f32_e32 v12, v29, v81
	s_delay_alu instid0(VALU_DEP_4) | instskip(NEXT) | instid1(VALU_DEP_3)
	v_sub_f32_e32 v124, v34, v89
	v_dual_add_f32 v40, v76, v45 :: v_dual_fmac_f32 v39, v117, v38
	s_delay_alu instid0(VALU_DEP_4) | instskip(SKIP_2) | instid1(VALU_DEP_4)
	v_dual_add_f32 v167, v4, v5 :: v_dual_sub_f32 v0, v74, v75
	v_add_f32_e32 v2, v75, v79
	v_add_f32_e32 v8, v74, v80
	v_dual_add_f32 v166, v39, v43 :: v_dual_fmac_f32 v35, v113, v36
	v_fma_f32 v36, v120, v44, -v9
	v_add_f32_e32 v120, v28, v34
	v_fma_f32 v26, v110, v32, -v1
	v_fma_f32 v32, v116, v38, -v37
	v_sub_f32_e32 v168, v35, v39
	v_dual_add_f32 v42, v146, v149 :: v_dual_sub_f32 v93, v149, v150
	v_sub_f32_e32 v92, v150, v149
	v_sub_f32_e32 v110, v20, v19
	;; [unrolled: 1-line block ×3, first 2 shown]
	s_delay_alu instid0(VALU_DEP_4)
	v_fma_f32 v5, -0.5, v42, v129
	v_sub_f32_e32 v42, v43, v87
	v_sub_f32_e32 v116, v23, v21
	;; [unrolled: 1-line block ×3, first 2 shown]
	v_dual_sub_f32 v44, v145, v146 :: v_dual_sub_f32 v1, v80, v79
	v_sub_f32_e32 v158, v30, v32
	v_sub_f32_e32 v159, v90, v36
	s_delay_alu instid0(VALU_DEP_4)
	v_dual_add_f32 v93, v46, v93 :: v_dual_add_f32 v46, v127, v143
	v_sub_f32_e32 v119, v27, v78
	v_sub_f32_e32 v7, v79, v80
	v_add_f32_e32 v37, v128, v76
	v_fma_f32 v4, -0.5, v12, v128
	v_fma_f32 v128, -0.5, v40, v128
	v_dual_add_f32 v40, v137, v35 :: v_dual_sub_f32 v101, v151, v152
	v_dual_add_f32 v169, v6, v7 :: v_dual_add_f32 v92, v44, v92
	v_add_f32_e32 v44, v126, v74
	v_fma_f32 v6, -0.5, v94, v130
	v_sub_f32_e32 v94, v29, v81
	v_dual_sub_f32 v104, v77, v25 :: v_dual_sub_f32 v9, v144, v143
	v_add_f32_e32 v100, v152, v25
	v_dual_sub_f32 v102, v152, v151 :: v_dual_sub_f32 v105, v25, v77
	v_add_f32_e32 v114, v23, v27
	v_add_f32_e32 v96, v96, v98
	;; [unrolled: 1-line block ×5, first 2 shown]
	v_dual_add_f32 v116, v122, v124 :: v_dual_add_f32 v165, v0, v1
	v_fma_f32 v0, -0.5, v2, v126
	v_fma_f32 v2, -0.5, v8, v126
	v_sub_f32_e32 v121, v26, v28
	v_dual_sub_f32 v124, v143, v148 :: v_dual_sub_f32 v123, v89, v34
	v_sub_f32_e32 v11, v147, v148
	v_add_f32_e32 v10, v143, v148
	v_sub_f32_e32 v14, v29, v76
	v_add_f32_e32 v106, v132, v19
	v_add_f32_e32 v108, v20, v24
	v_sub_f32_e32 v109, v19, v20
	v_dual_sub_f32 v111, v88, v24 :: v_dual_sub_f32 v118, v78, v27
	v_sub_f32_e32 v153, v31, v33
	v_add_f32_e32 v3, v144, v147
	v_add_f32_e32 v160, v32, v36
	v_sub_f32_e32 v163, v32, v30
	v_add_f32_e32 v171, v9, v11
	v_fma_f32 v7, -0.5, v100, v131
	v_fma_f32 v11, -0.5, v114, v133
	v_dual_add_f32 v114, v121, v123 :: v_dual_sub_f32 v121, v32, v36
	v_dual_add_f32 v32, v162, v32 :: v_dual_sub_f32 v115, v21, v23
	v_dual_add_f32 v100, v102, v105 :: v_dual_add_f32 v105, v131, v151
	v_add_f32_e32 v38, v129, v145
	v_dual_add_f32 v91, v145, v150 :: v_dual_sub_f32 v126, v76, v45
	v_sub_f32_e32 v95, v17, v18
	v_add_f32_e32 v161, v30, v90
	v_add_f32_e32 v174, v14, v16
	;; [unrolled: 1-line block ×3, first 2 shown]
	v_sub_f32_e32 v110, v20, v24
	v_fma_f32 v16, -0.5, v160, v136
	v_add_f32_e32 v20, v106, v20
	v_dual_add_f32 v106, v32, v36 :: v_dual_add_f32 v109, v115, v118
	v_add_f32_e32 v118, v153, v156
	v_fma_f32 v1, -0.5, v3, v127
	v_fma_f32 v3, -0.5, v10, v127
	;; [unrolled: 1-line block ×3, first 2 shown]
	v_dual_sub_f32 v108, v152, v25 :: v_dual_sub_f32 v127, v145, v150
	v_dual_sub_f32 v145, v30, v90 :: v_dual_add_f32 v30, v105, v152
	v_add_f32_e32 v113, v19, v88
	v_sub_f32_e32 v13, v76, v29
	v_sub_f32_e32 v123, v39, v43
	s_delay_alu instid0(VALU_DEP_4) | instskip(NEXT) | instid1(VALU_DEP_4)
	v_dual_sub_f32 v115, v28, v34 :: v_dual_add_f32 v76, v30, v25
	v_fma_f32 v132, -0.5, v113, v132
	v_add_f32_e32 v113, v134, v26
	v_add_f32_e32 v125, v26, v89
	v_sub_f32_e32 v119, v33, v41
	v_sub_f32_e32 v15, v45, v81
	v_add_f32_e32 v99, v17, v47
	v_add_f32_e32 v28, v113, v28
	v_fma_f32 v12, -0.5, v125, v134
	v_add_f32_e32 v101, v130, v17
	v_add_f32_e32 v103, v151, v77
	v_sub_f32_e32 v157, v41, v86
	v_fma_f32 v14, -0.5, v120, v134
	v_dual_add_f32 v122, v158, v159 :: v_dual_sub_f32 v97, v47, v22
	s_delay_alu instid0(VALU_DEP_4)
	v_fma_f32 v9, -0.5, v103, v131
	v_sub_f32_e32 v131, v151, v77
	v_sub_f32_e32 v143, v31, v86
	v_sub_f32_e32 v151, v35, v87
	v_sub_f32_e32 v103, v18, v22
	v_dual_add_f32 v18, v101, v18 :: v_dual_fmac_f32 v129, -0.5, v91
	v_sub_f32_e32 v91, v75, v79
	v_sub_f32_e32 v111, v23, v27
	v_dual_sub_f32 v134, v19, v88 :: v_dual_add_f32 v19, v44, v75
	v_dual_add_f32 v101, v28, v34 :: v_dual_fmamk_f32 v34, v143, 0x3f737871, v14
	v_dual_add_f32 v75, v18, v22 :: v_dual_fmamk_f32 v22, v127, 0x3f737871, v4
	v_add_f32_e32 v120, v154, v157
	v_add_f32_e32 v154, v168, v170
	v_fma_f32 v8, -0.5, v99, v130
	v_dual_sub_f32 v99, v146, v149 :: v_dual_fmac_f32 v14, 0xbf737871, v143
	v_sub_f32_e32 v130, v17, v47
	v_add_f32_e32 v173, v13, v15
	v_fma_f32 v15, -0.5, v142, v135
	v_sub_f32_e32 v142, v26, v89
	v_add_f32_e32 v26, v37, v29
	v_add_f32_e32 v95, v95, v97
	v_sub_f32_e32 v97, v144, v147
	v_sub_f32_e32 v164, v36, v90
	v_dual_fmamk_f32 v36, v119, 0xbf737871, v12 :: v_dual_add_f32 v117, v21, v78
	s_delay_alu instid0(VALU_DEP_3) | instskip(SKIP_3) | instid1(VALU_DEP_3)
	v_dual_sub_f32 v175, v39, v35 :: v_dual_fmamk_f32 v18, v97, 0xbf737871, v2
	v_fmac_f32_e32 v2, 0x3f737871, v97
	v_dual_fmac_f32 v22, 0x3f167918, v99 :: v_dual_add_f32 v155, v31, v86
	v_dual_fmac_f32 v4, 0xbf737871, v127 :: v_dual_add_f32 v107, v133, v21
	v_fmac_f32_e32 v2, 0xbf167918, v124
	v_fmamk_f32 v32, v111, 0xbf737871, v132
	s_delay_alu instid0(VALU_DEP_4)
	v_fma_f32 v13, -0.5, v155, v135
	v_add_f32_e32 v155, v175, v42
	v_dual_add_f32 v42, v19, v79 :: v_dual_add_f32 v79, v20, v24
	v_fmamk_f32 v20, v124, 0x3f737871, v0
	v_fmamk_f32 v24, v99, 0xbf737871, v128
	v_fmac_f32_e32 v128, 0x3f737871, v99
	v_fma_f32 v136, -0.5, v161, v136
	v_fmac_f32_e32 v0, 0xbf737871, v124
	v_fmac_f32_e32 v20, 0x3f167918, v97
	s_delay_alu instid0(VALU_DEP_4) | instskip(SKIP_4) | instid1(VALU_DEP_2)
	v_dual_fmac_f32 v133, -0.5, v117 :: v_dual_fmac_f32 v128, 0xbf167918, v127
	v_fmac_f32_e32 v36, 0x3f167918, v143
	v_add_f32_e32 v117, v135, v31
	v_dual_sub_f32 v135, v21, v78 :: v_dual_fmac_f32 v24, 0x3f167918, v127
	v_dual_sub_f32 v125, v74, v80 :: v_dual_fmac_f32 v0, 0xbf167918, v97
	v_dual_add_f32 v29, v38, v146 :: v_dual_fmac_f32 v32, 0x3f167918, v135
	v_fmamk_f32 v30, v135, 0x3f737871, v10
	v_dual_fmac_f32 v10, 0xbf737871, v135 :: v_dual_add_f32 v21, v46, v144
	v_add_f32_e32 v46, v26, v81
	v_fmamk_f32 v28, v108, 0xbf737871, v8
	v_fmac_f32_e32 v132, 0x3f737871, v111
	s_delay_alu instid0(VALU_DEP_4)
	v_dual_fmac_f32 v10, 0xbf167918, v111 :: v_dual_add_f32 v31, v117, v33
	v_dual_add_f32 v33, v40, v39 :: v_dual_fmac_f32 v2, 0x3e9e377a, v169
	v_add_f32_e32 v44, v21, v147
	v_fmac_f32_e32 v4, 0xbf167918, v99
	v_fmamk_f32 v26, v131, 0x3f737871, v6
	v_fmac_f32_e32 v6, 0xbf737871, v131
	v_dual_fmac_f32 v18, 0x3f167918, v124 :: v_dual_add_f32 v23, v107, v23
	v_add_f32_e32 v74, v29, v149
	v_fmamk_f32 v21, v125, 0xbf737871, v1
	v_dual_add_f32 v107, v33, v43 :: v_dual_fmac_f32 v22, 0x3e9e377a, v173
	v_fmac_f32_e32 v6, 0xbf167918, v108
	v_dual_fmamk_f32 v38, v151, 0x3f737871, v16 :: v_dual_add_f32 v43, v44, v148
	v_dual_add_f32 v44, v46, v45 :: v_dual_fmamk_f32 v19, v91, 0x3f737871, v3
	v_fmac_f32_e32 v3, 0xbf737871, v91
	v_fmac_f32_e32 v1, 0x3f737871, v125
	v_dual_fmac_f32 v18, 0x3e9e377a, v169 :: v_dual_add_f32 v81, v23, v27
	v_fmac_f32_e32 v0, 0x3e9e377a, v165
	v_fmamk_f32 v23, v126, 0xbf737871, v5
	v_fmamk_f32 v25, v94, 0x3f737871, v129
	v_dual_fmac_f32 v129, 0xbf737871, v94 :: v_dual_add_f32 v172, v35, v87
	v_dual_fmac_f32 v5, 0x3f737871, v126 :: v_dual_fmac_f32 v8, 0x3f737871, v108
	v_fmamk_f32 v27, v130, 0xbf737871, v7
	v_fmac_f32_e32 v7, 0x3f737871, v130
	v_fmamk_f32 v29, v103, 0x3f737871, v9
	v_fmac_f32_e32 v9, 0xbf737871, v103
	v_fmac_f32_e32 v16, 0xbf737871, v151
	v_fmamk_f32 v40, v123, 0xbf737871, v136
	v_fmamk_f32 v33, v110, 0x3f737871, v133
	v_fmac_f32_e32 v133, 0xbf737871, v110
	s_delay_alu instid0(VALU_DEP_4)
	v_dual_add_f32 v45, v74, v150 :: v_dual_fmac_f32 v16, 0xbf167918, v123
	v_add_f32_e32 v74, v79, v88
	v_fmac_f32_e32 v12, 0x3f737871, v119
	v_fmac_f32_e32 v21, 0xbf167918, v91
	v_dual_fmac_f32 v132, 0xbf167918, v135 :: v_dual_add_f32 v105, v31, v41
	v_fmamk_f32 v31, v134, 0xbf737871, v11
	v_fmac_f32_e32 v11, 0x3f737871, v134
	v_fmamk_f32 v35, v142, 0xbf737871, v15
	v_fmac_f32_e32 v19, 0xbf167918, v125
	v_fmac_f32_e32 v3, 0x3f167918, v125
	;; [unrolled: 1-line block ×4, first 2 shown]
	v_add_f32_e32 v46, v75, v47
	v_fmamk_f32 v37, v115, 0x3f737871, v13
	v_fmac_f32_e32 v13, 0xbf737871, v115
	v_fmac_f32_e32 v23, 0xbf167918, v94
	;; [unrolled: 1-line block ×4, first 2 shown]
	v_dual_add_f32 v153, v163, v164 :: v_dual_fmac_f32 v28, 0x3f167918, v131
	v_fma_f32 v17, -0.5, v166, v137
	v_dual_fmac_f32 v137, -0.5, v172 :: v_dual_fmac_f32 v8, 0xbf167918, v131
	v_fmac_f32_e32 v136, 0x3f737871, v123
	v_dual_add_f32 v42, v42, v80 :: v_dual_add_f32 v47, v76, v77
	v_dual_fmac_f32 v40, 0x3f167918, v151 :: v_dual_fmac_f32 v5, 0x3f167918, v94
	v_fmac_f32_e32 v26, 0x3f167918, v108
	v_fmac_f32_e32 v27, 0xbf167918, v103
	;; [unrolled: 1-line block ×4, first 2 shown]
	v_dual_fmac_f32 v9, 0x3f167918, v130 :: v_dual_fmac_f32 v30, 0x3f167918, v111
	v_fmac_f32_e32 v31, 0xbf167918, v110
	v_fmac_f32_e32 v11, 0x3f167918, v110
	;; [unrolled: 1-line block ×6, first 2 shown]
	v_dual_fmac_f32 v20, 0x3e9e377a, v165 :: v_dual_fmac_f32 v21, 0x3e9e377a, v167
	v_fmac_f32_e32 v128, 0x3e9e377a, v174
	v_fmac_f32_e32 v35, 0xbf167918, v115
	v_dual_fmac_f32 v19, 0x3e9e377a, v171 :: v_dual_fmac_f32 v28, 0x3e9e377a, v96
	v_dual_fmac_f32 v3, 0x3e9e377a, v171 :: v_dual_fmac_f32 v8, 0x3e9e377a, v96
	v_fmac_f32_e32 v37, 0xbf167918, v142
	v_fmac_f32_e32 v13, 0x3f167918, v142
	v_dual_fmac_f32 v1, 0x3e9e377a, v167 :: v_dual_fmac_f32 v30, 0x3e9e377a, v102
	v_dual_fmac_f32 v23, 0x3e9e377a, v92 :: v_dual_fmac_f32 v26, 0x3e9e377a, v95
	v_dual_add_f32 v79, v107, v87 :: v_dual_fmac_f32 v24, 0x3e9e377a, v174
	v_dual_fmac_f32 v25, 0x3e9e377a, v93 :: v_dual_fmac_f32 v10, 0x3e9e377a, v102
	v_dual_fmac_f32 v129, 0x3e9e377a, v93 :: v_dual_fmac_f32 v32, 0x3e9e377a, v104
	v_dual_add_f32 v75, v81, v78 :: v_dual_fmac_f32 v136, 0xbf167918, v151
	v_dual_add_f32 v77, v105, v86 :: v_dual_fmac_f32 v4, 0x3e9e377a, v173
	v_fmac_f32_e32 v38, 0x3f167918, v123
	v_dual_fmac_f32 v5, 0x3e9e377a, v92 :: v_dual_fmac_f32 v6, 0x3e9e377a, v95
	v_dual_fmac_f32 v27, 0x3e9e377a, v98 :: v_dual_fmac_f32 v132, 0x3e9e377a, v104
	;; [unrolled: 1-line block ×9, first 2 shown]
	ds_store_2addr_b64 v138, v[42:43], v[20:21] offset1:15
	ds_store_2addr_b64 v138, v[18:19], v[2:3] offset0:30 offset1:45
	ds_store_b64 v138, v[0:1] offset:480
	ds_store_2addr_b64 v139, v[44:45], v[22:23] offset1:15
	ds_store_2addr_b64 v139, v[24:25], v[128:129] offset0:30 offset1:45
	ds_store_b64 v139, v[4:5] offset:480
	;; [unrolled: 3-line block ×3, first 2 shown]
	ds_store_2addr_b64 v141, v[74:75], v[30:31] offset1:15
	ds_store_2addr_b64 v141, v[32:33], v[132:133] offset0:30 offset1:45
	v_lshrrev_b16 v0, 1, v84
	v_dual_add_f32 v76, v101, v89 :: v_dual_fmac_f32 v35, 0x3e9e377a, v118
	v_dual_fmac_f32 v136, 0x3e9e377a, v153 :: v_dual_fmac_f32 v37, 0x3e9e377a, v120
	v_fmac_f32_e32 v13, 0x3e9e377a, v120
	ds_store_b64 v141, v[10:11] offset:480
	ds_store_2addr_b64 v83, v[76:77], v[34:35] offset1:15
	ds_store_2addr_b64 v83, v[36:37], v[12:13] offset0:30 offset1:45
	v_lshrrev_b16 v10, 14, v85
	v_add_nc_u16 v0, v0, v71
	v_fmac_f32_e32 v15, 0x3f737871, v142
	v_dual_add_f32 v78, v106, v90 :: v_dual_fmamk_f32 v41, v121, 0x3f737871, v137
	v_fmac_f32_e32 v137, 0xbf737871, v121
	v_fmamk_f32 v39, v145, 0xbf737871, v17
	v_fmac_f32_e32 v17, 0x3f737871, v145
	v_mul_lo_u16 v2, 0x4b, v10
	v_lshrrev_b16 v9, 6, v0
	v_fmac_f32_e32 v15, 0x3f167918, v115
	v_fmac_f32_e32 v41, 0xbf167918, v145
	;; [unrolled: 1-line block ×3, first 2 shown]
	s_wait_alu 0xf1ff
	v_cndmask_b32_e64 v13, v72, v48, s0
	v_fmac_f32_e32 v39, 0xbf167918, v121
	v_fmac_f32_e32 v17, 0x3f167918, v121
	v_sub_nc_u16 v0, v66, v2
	v_mul_lo_u16 v2, 0x4b, v9
	v_fmac_f32_e32 v15, 0x3e9e377a, v118
	v_fmac_f32_e32 v41, 0x3e9e377a, v155
	;; [unrolled: 1-line block ×3, first 2 shown]
	v_add3_u32 v1, 0, v73, v82
	v_mul_i32_i24_e32 v7, 9, v13
	v_dual_mov_b32 v8, 0 :: v_dual_fmac_f32 v39, 0x3e9e377a, v154
	v_fmac_f32_e32 v17, 0x3e9e377a, v154
	v_sub_nc_u16 v2, v68, v2
	ds_store_b64 v83, v[14:15] offset:480
	ds_store_2addr_b64 v1, v[78:79], v[38:39] offset1:15
	ds_store_2addr_b64 v1, v[40:41], v[136:137] offset0:30 offset1:45
	ds_store_b64 v1, v[16:17] offset:480
	v_and_b32_e32 v12, 0xff, v0
	v_lshlrev_b64_e32 v[0:1], 3, v[7:8]
	v_and_b32_e32 v11, 0xffff, v2
	global_wb scope:SCOPE_SE
	s_wait_dscnt 0x0
	s_barrier_signal -1
	v_mul_u32_u24_e32 v3, 9, v12
	s_barrier_wait -1
	v_add_co_u32 v0, s0, s4, v0
	v_mul_u32_u24_e32 v2, 9, v11
	s_wait_alu 0xf1ff
	v_add_co_ci_u32_e64 v1, s0, s5, v1, s0
	v_lshlrev_b32_e32 v3, 3, v3
	global_inv scope:SCOPE_SE
	v_lshlrev_b32_e32 v2, 3, v2
	s_clause 0xe
	global_load_b128 v[15:18], v[0:1], off offset:592
	global_load_b128 v[20:23], v3, s[4:5] offset:592
	global_load_b128 v[25:28], v2, s[4:5] offset:592
	global_load_b128 v[41:44], v[0:1], off offset:608
	global_load_b128 v[85:88], v3, s[4:5] offset:608
	global_load_b128 v[89:92], v2, s[4:5] offset:608
	;; [unrolled: 3-line block ×3, first 2 shown]
	global_load_b64 v[161:162], v[0:1], off offset:640
	global_load_b128 v[105:108], v[0:1], off offset:576
	global_load_b128 v[109:112], v3, s[4:5] offset:576
	global_load_b128 v[113:116], v2, s[4:5] offset:576
	global_load_b64 v[163:164], v3, s[4:5] offset:640
	global_load_b64 v[165:166], v2, s[4:5] offset:640
	v_add_nc_u32_e32 v0, 0x2000, v52
	ds_load_2addr_b32 v[29:30], v0 offset0:202 offset1:203
	ds_load_2addr_b64 v[36:39], v59 offset0:92 offset1:217
	ds_load_2addr_b64 v[117:120], v49 offset0:98 offset1:223
	ds_load_2addr_b64 v[121:124], v58 offset0:86 offset1:211
	ds_load_2addr_b64 v[125:128], v65 offset0:74 offset1:199
	ds_load_2addr_b64 v[129:132], v57 offset0:80 offset1:205
	ds_load_2addr_b64 v[133:136], v54 offset0:68 offset1:193
	ds_load_2addr_b64 v[137:140], v60 offset0:56 offset1:181
	ds_load_2addr_b64 v[141:144], v53 offset0:62 offset1:187
	ds_load_2addr_b64 v[145:148], v63 offset0:50 offset1:175
	ds_load_2addr_b64 v[149:152], v61 offset0:110 offset1:235
	ds_load_2addr_b64 v[153:156], v55 offset0:116 offset1:241
	ds_load_b64 v[167:168], v52 offset:8000
	ds_load_2addr_b64 v[157:160], v62 offset0:44 offset1:169
	ds_load_2addr_b64 v[0:3], v56 offset0:122 offset1:247
	ds_load_2addr_b64 v[4:7], v52 offset1:125
	v_cmp_lt_u32_e64 s0, 0x4a, v48
	v_lshlrev_b32_e32 v13, 3, v13
	v_and_b32_e32 v10, 0xffff, v10
	global_wb scope:SCOPE_SE
	s_wait_loadcnt_dscnt 0x0
	s_barrier_signal -1
	s_barrier_wait -1
	global_inv scope:SCOPE_SE
	v_dual_mul_f32 v24, v39, v23 :: v_dual_and_b32 v9, 0xffff, v9
	v_dual_mul_f32 v34, v117, v21 :: v_dual_mul_f32 v31, v38, v23
	v_mul_f32_e32 v35, v129, v86
	v_mul_f32_e32 v72, v125, v44
	s_delay_alu instid0(VALU_DEP_4) | instskip(NEXT) | instid1(VALU_DEP_4)
	v_fma_f32 v38, v38, v22, -v24
	v_fmac_f32_e32 v34, v118, v20
	v_mul_f32_e32 v23, v118, v21
	v_dual_fmac_f32 v35, v130, v85 :: v_dual_mul_f32 v14, v119, v26
	v_dual_mul_f32 v19, v30, v16 :: v_dual_mul_f32 v80, v16, v29
	v_mul_f32_e32 v16, v37, v18
	s_delay_alu instid0(VALU_DEP_3) | instskip(SKIP_4) | instid1(VALU_DEP_4)
	v_sub_f32_e32 v118, v35, v34
	v_mul_f32_e32 v76, v36, v18
	v_mul_f32_e32 v18, v121, v28
	;; [unrolled: 1-line block ×3, first 2 shown]
	v_fma_f32 v81, v36, v17, -v16
	v_dual_mul_f32 v33, v126, v44 :: v_dual_fmac_f32 v76, v37, v17
	s_delay_alu instid0(VALU_DEP_4) | instskip(NEXT) | instid1(VALU_DEP_4)
	v_fmac_f32_e32 v18, v122, v27
	v_dual_fmac_f32 v24, v168, v115 :: v_dual_mul_f32 v37, v141, v98
	v_mul_f32_e32 v44, v130, v86
	s_delay_alu instid0(VALU_DEP_4) | instskip(SKIP_1) | instid1(VALU_DEP_4)
	v_fma_f32 v82, v125, v43, -v33
	v_fmac_f32_e32 v72, v126, v43
	v_dual_sub_f32 v130, v18, v24 :: v_dual_mul_f32 v79, v123, v42
	v_fmac_f32_e32 v37, v142, v97
	v_dual_mul_f32 v21, v120, v26 :: v_dual_mul_f32 v26, v122, v28
	v_mul_f32_e32 v28, v124, v42
	v_mul_f32_e32 v42, v128, v88
	;; [unrolled: 1-line block ×4, first 2 shown]
	v_fma_f32 v83, v15, v29, -v19
	v_fmac_f32_e32 v80, v30, v15
	v_fma_f32 v42, v127, v87, -v42
	v_mul_f32_e32 v71, v140, v100
	v_dual_mul_f32 v100, v168, v116 :: v_dual_mul_f32 v15, v131, v90
	v_mul_f32_e32 v73, v142, v98
	v_mul_f32_e32 v16, v143, v102
	;; [unrolled: 1-line block ×3, first 2 shown]
	v_dual_fmac_f32 v46, v154, v109 :: v_dual_mul_f32 v19, v133, v92
	v_fma_f32 v33, v167, v115, -v100
	v_fma_f32 v43, v129, v85, -v44
	v_fmac_f32_e32 v15, v132, v89
	v_fma_f32 v44, v141, v97, -v73
	v_fmac_f32_e32 v16, v144, v101
	v_fma_f32 v73, v153, v109, -v98
	v_add_f32_e32 v98, v46, v34
	v_dual_fmac_f32 v19, v134, v91 :: v_dual_add_f32 v142, v0, v33
	v_fmac_f32_e32 v31, v39, v22
	v_fma_f32 v39, v117, v20, -v23
	v_dual_mul_f32 v23, v144, v102 :: v_dual_mul_f32 v74, v137, v96
	v_fmac_f32_e32 v14, v120, v25
	v_fma_f32 v26, v121, v27, -v26
	v_fma_f32 v86, v123, v41, -v28
	v_mul_f32_e32 v28, v156, v114
	v_fma_f32 v27, v143, v101, -v23
	v_dual_mul_f32 v29, v134, v92 :: v_dual_mul_f32 v92, v148, v162
	v_add_f32_e32 v122, v76, v72
	v_dual_fmac_f32 v79, v124, v41 :: v_dual_add_f32 v124, v38, v42
	v_mul_f32_e32 v41, v157, v164
	v_mul_f32_e32 v32, v127, v88
	;; [unrolled: 1-line block ×3, first 2 shown]
	v_fmac_f32_e32 v74, v138, v95
	v_fma_f32 v85, v147, v161, -v92
	v_fma_f32 v23, v155, v113, -v28
	v_sub_f32_e32 v92, v35, v37
	v_fma_f32 v21, v119, v25, -v21
	v_mul_f32_e32 v47, v138, v96
	v_mul_f32_e32 v96, v152, v112
	v_dual_sub_f32 v138, v15, v14 :: v_dual_fmac_f32 v41, v158, v163
	v_dual_mul_f32 v45, v132, v90 :: v_dual_mul_f32 v90, v146, v104
	v_mul_f32_e32 v40, v151, v112
	v_mul_f32_e32 v102, v158, v164
	v_fmac_f32_e32 v32, v128, v87
	s_delay_alu instid0(VALU_DEP_4)
	v_fma_f32 v25, v131, v89, -v45
	v_fma_f32 v87, v135, v93, -v30
	;; [unrolled: 1-line block ×3, first 2 shown]
	v_sub_f32_e32 v90, v38, v42
	v_fma_f32 v45, v139, v99, -v71
	v_fma_f32 v71, v151, v111, -v96
	v_dual_mul_f32 v77, v135, v94 :: v_dual_mul_f32 v22, v145, v104
	v_mul_f32_e32 v78, v147, v162
	v_mul_f32_e32 v94, v108, v150
	;; [unrolled: 1-line block ×5, first 2 shown]
	v_dual_mul_f32 v75, v106, v2 :: v_dual_fmac_f32 v36, v140, v99
	v_fmac_f32_e32 v40, v152, v111
	v_dual_add_f32 v106, v6, v71 :: v_dual_fmac_f32 v77, v136, v93
	v_add_f32_e32 v132, v25, v27
	v_fma_f32 v29, v133, v91, -v29
	v_mul_f32_e32 v17, v155, v114
	v_add_f32_e32 v100, v23, v21
	v_fma_f32 v84, v137, v95, -v47
	v_fma_f32 v47, v157, v163, -v102
	v_mul_f32_e32 v20, v159, v166
	v_fmac_f32_e32 v22, v146, v103
	v_fmac_f32_e32 v78, v148, v161
	v_fma_f32 v89, v107, v149, -v94
	v_fmac_f32_e32 v88, v107, v150
	v_fma_f32 v28, v159, v165, -v104
	v_sub_f32_e32 v104, v26, v29
	v_dual_fmac_f32 v17, v156, v113 :: v_dual_sub_f32 v150, v85, v87
	v_fma_f32 v2, v105, v2, -v108
	v_add_f32_e32 v112, v43, v44
	v_add_f32_e32 v113, v39, v47
	v_sub_f32_e32 v114, v43, v39
	v_sub_f32_e32 v115, v44, v47
	v_add_f32_e32 v128, v18, v19
	v_sub_f32_e32 v110, v31, v40
	v_sub_f32_e32 v102, v25, v27
	v_dual_fmac_f32 v75, v105, v3 :: v_dual_add_f32 v140, v26, v29
	v_sub_f32_e32 v108, v33, v30
	v_sub_f32_e32 v146, v84, v82
	v_add_f32_e32 v116, v35, v37
	v_sub_f32_e32 v148, v74, v72
	v_dual_add_f32 v3, v31, v32 :: v_dual_sub_f32 v152, v78, v77
	v_dual_sub_f32 v111, v32, v36 :: v_dual_sub_f32 v158, v79, v77
	v_add_f32_e32 v154, v79, v77
	v_add_f32_e32 v117, v34, v41
	v_sub_f32_e32 v119, v37, v41
	v_dual_fmac_f32 v20, v160, v165 :: v_dual_add_f32 v97, v73, v39
	v_add_f32_e32 v120, v81, v82
	v_add_f32_e32 v121, v89, v84
	v_dual_sub_f32 v93, v43, v44 :: v_dual_add_f32 v126, v4, v89
	v_sub_f32_e32 v131, v19, v22
	v_add_f32_e32 v123, v88, v74
	v_add_f32_e32 v143, v2, v83
	v_add_f32_e32 v127, v5, v88
	v_dual_add_f32 v144, v75, v80 :: v_dual_sub_f32 v157, v80, v78
	v_sub_f32_e32 v147, v88, v76
	v_sub_f32_e32 v159, v88, v74
	v_sub_f32_e32 v160, v76, v72
	v_fma_f32 v162, -0.5, v3, v7
	v_add_f32_e32 v111, v110, v111
	v_sub_f32_e32 v110, v82, v84
	v_sub_f32_e32 v88, v76, v88
	v_add_f32_e32 v91, v7, v40
	v_fma_f32 v112, -0.5, v112, v73
	v_fmac_f32_e32 v73, -0.5, v113
	v_sub_f32_e32 v3, v86, v83
	v_dual_add_f32 v113, v114, v115 :: v_dual_sub_f32 v114, v87, v85
	v_fma_f32 v115, -0.5, v116, v46
	v_fmac_f32_e32 v46, -0.5, v117
	v_dual_sub_f32 v116, v79, v80 :: v_dual_add_f32 v117, v118, v119
	v_dual_sub_f32 v118, v77, v78 :: v_dual_add_f32 v109, v40, v36
	v_sub_f32_e32 v156, v86, v87
	v_sub_f32_e32 v95, v39, v47
	v_add_f32_e32 v133, v21, v28
	v_add_f32_e32 v137, v14, v20
	;; [unrolled: 1-line block ×3, first 2 shown]
	v_sub_f32_e32 v149, v83, v86
	v_sub_f32_e32 v151, v80, v79
	v_dual_add_f32 v153, v86, v87 :: v_dual_add_f32 v80, v80, v78
	v_fma_f32 v119, -0.5, v120, v4
	v_fma_f32 v120, -0.5, v128, v1
	v_add_f32_e32 v128, v130, v131
	v_fma_f32 v121, -0.5, v121, v4
	v_fma_f32 v122, -0.5, v122, v5
	;; [unrolled: 1-line block ×3, first 2 shown]
	v_dual_add_f32 v4, v126, v81 :: v_dual_add_f32 v5, v127, v76
	v_dual_add_f32 v76, v143, v86 :: v_dual_add_f32 v79, v144, v79
	v_add_f32_e32 v86, v3, v114
	v_add_f32_e32 v114, v116, v118
	v_fmamk_f32 v116, v93, 0x3f737871, v46
	v_fmac_f32_e32 v46, 0xbf737871, v93
	v_dual_sub_f32 v134, v25, v21 :: v_dual_sub_f32 v107, v14, v20
	v_sub_f32_e32 v145, v89, v81
	v_dual_add_f32 v3, v4, v82 :: v_dual_add_f32 v4, v5, v72
	v_dual_add_f32 v5, v76, v87 :: v_dual_add_f32 v76, v79, v77
	v_dual_fmac_f32 v46, 0x3f167918, v95 :: v_dual_sub_f32 v135, v27, v28
	s_delay_alu instid0(VALU_DEP_4) | instskip(SKIP_1) | instid1(VALU_DEP_4)
	v_dual_add_f32 v126, v145, v146 :: v_dual_add_f32 v125, v71, v45
	v_add_f32_e32 v136, v15, v16
	v_add_f32_e32 v78, v76, v78
	s_delay_alu instid0(VALU_DEP_4)
	v_add_f32_e32 v130, v134, v135
	v_fma_f32 v135, -0.5, v153, v2
	v_sub_f32_e32 v72, v72, v74
	v_fma_f32 v124, -0.5, v124, v6
	v_fma_f32 v6, -0.5, v125, v6
	;; [unrolled: 1-line block ×4, first 2 shown]
	v_fmac_f32_e32 v75, -0.5, v80
	v_add_f32_e32 v72, v88, v72
	v_fmac_f32_e32 v46, 0x3e9e377a, v117
	v_fmamk_f32 v80, v157, 0x3f737871, v135
	v_fmac_f32_e32 v7, -0.5, v109
	v_add_f32_e32 v3, v3, v84
	v_sub_f32_e32 v161, v89, v84
	s_delay_alu instid0(VALU_DEP_4)
	v_dual_sub_f32 v89, v81, v89 :: v_dual_fmac_f32 v80, 0x3f167918, v158
	v_dual_add_f32 v129, v24, v22 :: v_dual_add_f32 v134, v151, v152
	v_sub_f32_e32 v109, v81, v82
	v_add_f32_e32 v81, v5, v85
	v_add_f32_e32 v77, v4, v74
	v_dual_sub_f32 v39, v39, v43 :: v_dual_fmamk_f32 v88, v160, 0xbf737871, v121
	v_sub_f32_e32 v94, v71, v45
	s_delay_alu instid0(VALU_DEP_4) | instskip(SKIP_4) | instid1(VALU_DEP_4)
	v_dual_add_f32 v4, v3, v81 :: v_dual_add_f32 v141, v33, v30
	v_fmamk_f32 v82, v159, 0x3f737871, v119
	v_fmac_f32_e32 v119, 0xbf737871, v159
	v_dual_fmac_f32 v17, -0.5, v137 :: v_dual_fmac_f32 v88, 0x3f167918, v159
	v_sub_f32_e32 v139, v16, v20
	v_dual_fmac_f32 v82, 0x3f167918, v160 :: v_dual_sub_f32 v155, v83, v85
	s_delay_alu instid0(VALU_DEP_4) | instskip(SKIP_1) | instid1(VALU_DEP_3)
	v_dual_fmac_f32 v119, 0xbf167918, v160 :: v_dual_sub_f32 v96, v34, v41
	v_fmac_f32_e32 v121, 0x3f737871, v160
	v_fmac_f32_e32 v82, 0x3e9e377a, v126
	s_delay_alu instid0(VALU_DEP_4) | instskip(SKIP_2) | instid1(VALU_DEP_3)
	v_fmamk_f32 v79, v155, 0xbf737871, v136
	v_dual_fmamk_f32 v87, v156, 0x3f737871, v75 :: v_dual_fmac_f32 v136, 0x3f737871, v155
	v_dual_fmac_f32 v119, 0x3e9e377a, v126 :: v_dual_sub_f32 v126, v40, v36
	v_fmac_f32_e32 v79, 0xbf167918, v156
	s_delay_alu instid0(VALU_DEP_3)
	v_fmac_f32_e32 v87, 0xbf167918, v155
	v_add_f32_e32 v83, v83, v85
	v_add_f32_e32 v99, v1, v24
	v_fmac_f32_e32 v136, 0x3f167918, v156
	v_fmac_f32_e32 v79, 0x3e9e377a, v134
	;; [unrolled: 1-line block ×3, first 2 shown]
	v_fmac_f32_e32 v1, -0.5, v129
	v_fma_f32 v129, -0.5, v132, v23
	v_fmac_f32_e32 v23, -0.5, v133
	v_dual_add_f32 v133, v149, v150 :: v_dual_mul_f32 v84, 0x3f167918, v79
	v_fma_f32 v132, -0.5, v140, v0
	v_fma_f32 v0, -0.5, v141, v0
	s_delay_alu instid0(VALU_DEP_3) | instskip(SKIP_3) | instid1(VALU_DEP_4)
	v_dual_sub_f32 v105, v21, v28 :: v_dual_fmac_f32 v80, 0x3e9e377a, v133
	v_fmamk_f32 v140, v102, 0x3f737871, v17
	v_fmac_f32_e32 v17, 0xbf737871, v102
	v_dual_add_f32 v131, v138, v139 :: v_dual_fmamk_f32 v138, v104, 0x3f737871, v1
	v_fmac_f32_e32 v84, 0x3f4f1bbd, v80
	v_dual_mul_f32 v85, 0xbf167918, v80 :: v_dual_add_f32 v74, v89, v110
	s_delay_alu instid0(VALU_DEP_4) | instskip(SKIP_1) | instid1(VALU_DEP_4)
	v_fmac_f32_e32 v17, 0x3f167918, v105
	v_fmamk_f32 v110, v109, 0x3f737871, v123
	v_add_f32_e32 v80, v82, v84
	v_sub_f32_e32 v82, v82, v84
	v_fmac_f32_e32 v2, -0.5, v83
	v_fmac_f32_e32 v88, 0x3e9e377a, v74
	v_fmac_f32_e32 v75, 0xbf737871, v156
	v_dual_sub_f32 v103, v15, v16 :: v_dual_fmamk_f32 v118, v92, 0xbf737871, v73
	s_delay_alu instid0(VALU_DEP_4) | instskip(SKIP_1) | instid1(VALU_DEP_4)
	v_fmamk_f32 v141, v158, 0xbf737871, v2
	v_fmac_f32_e32 v2, 0x3f737871, v158
	v_fmac_f32_e32 v75, 0x3f167918, v155
	;; [unrolled: 1-line block ×11, first 2 shown]
	v_fmamk_f32 v137, v90, 0x3f737871, v7
	v_fmac_f32_e32 v7, 0xbf737871, v90
	v_dual_fmac_f32 v121, 0x3e9e377a, v74 :: v_dual_fmac_f32 v118, 0x3e9e377a, v113
	s_delay_alu instid0(VALU_DEP_4) | instskip(SKIP_3) | instid1(VALU_DEP_4)
	v_mul_f32_e32 v86, 0x3e9e377a, v2
	v_dual_sub_f32 v76, v3, v81 :: v_dual_fmamk_f32 v83, v161, 0xbf737871, v122
	v_dual_add_f32 v127, v147, v148 :: v_dual_fmac_f32 v110, 0xbf167918, v161
	v_fmac_f32_e32 v123, 0x3f167918, v161
	v_fma_f32 v114, 0x3f737871, v75, -v86
	v_fmamk_f32 v139, v103, 0xbf737871, v23
	v_dual_fmac_f32 v23, 0x3f737871, v103 :: v_dual_fmac_f32 v122, 0x3f737871, v161
	v_fmac_f32_e32 v83, 0xbf167918, v109
	v_fmac_f32_e32 v73, 0x3f737871, v92
	v_dual_fmac_f32 v1, 0xbf737871, v104 :: v_dual_add_f32 v86, v121, v114
	v_fmac_f32_e32 v85, 0x3f4f1bbd, v79
	s_delay_alu instid0(VALU_DEP_4)
	v_dual_fmac_f32 v83, 0x3e9e377a, v127 :: v_dual_fmac_f32 v110, 0x3e9e377a, v72
	v_fmac_f32_e32 v123, 0x3e9e377a, v72
	v_fmac_f32_e32 v135, 0xbf737871, v157
	;; [unrolled: 1-line block ×3, first 2 shown]
	v_sub_f32_e32 v72, v121, v114
	v_dual_sub_f32 v114, v31, v32 :: v_dual_fmac_f32 v7, 0x3f167918, v94
	v_fmac_f32_e32 v17, 0x3e9e377a, v131
	v_add_f32_e32 v81, v83, v85
	v_fmac_f32_e32 v135, 0xbf167918, v158
	v_fmac_f32_e32 v122, 0x3e9e377a, v127
	;; [unrolled: 1-line block ×3, first 2 shown]
	v_fmamk_f32 v121, v114, 0xbf737871, v6
	v_fmac_f32_e32 v6, 0x3f737871, v114
	v_fmac_f32_e32 v73, 0xbf167918, v96
	;; [unrolled: 1-line block ×4, first 2 shown]
	v_mul_f32_e32 v3, 0x3e9e377a, v46
	v_fmac_f32_e32 v135, 0x3e9e377a, v133
	v_add_f32_e32 v5, v77, v78
	v_dual_sub_f32 v77, v77, v78 :: v_dual_mul_f32 v78, 0x3e9e377a, v17
	v_fmac_f32_e32 v6, 0xbf167918, v126
	v_fmac_f32_e32 v73, 0x3e9e377a, v113
	;; [unrolled: 1-line block ×4, first 2 shown]
	v_fma_f32 v78, 0xbf737871, v23, -v78
	v_mul_f32_e32 v89, 0xbf737871, v141
	v_fma_f32 v3, 0xbf737871, v73, -v3
	v_dual_fmac_f32 v116, 0xbf167918, v95 :: v_dual_sub_f32 v83, v83, v85
	v_mul_f32_e32 v109, 0x3f4f1bbd, v136
	s_delay_alu instid0(VALU_DEP_4) | instskip(NEXT) | instid1(VALU_DEP_4)
	v_fmac_f32_e32 v89, 0x3e9e377a, v87
	v_add_f32_e32 v79, v7, v3
	v_sub_f32_e32 v7, v7, v3
	v_add_f32_e32 v3, v1, v78
	v_dual_sub_f32 v1, v1, v78 :: v_dual_mul_f32 v78, 0x3f737871, v87
	v_fmac_f32_e32 v116, 0x3e9e377a, v117
	v_add_f32_e32 v85, v110, v89
	v_mul_f32_e32 v87, 0x3e9e377a, v75
	v_sub_f32_e32 v75, v110, v89
	v_fmac_f32_e32 v78, 0x3e9e377a, v141
	v_sub_f32_e32 v89, v42, v45
	v_fma_f32 v110, 0xbf167918, v135, -v109
	v_fma_f32 v2, 0xbf737871, v2, -v87
	v_fmac_f32_e32 v138, 0xbf167918, v108
	v_add_f32_e32 v84, v88, v78
	v_sub_f32_e32 v74, v88, v78
	v_sub_f32_e32 v88, v38, v71
	v_dual_mul_f32 v78, 0x3f4f1bbd, v135 :: v_dual_add_f32 v87, v123, v2
	v_dual_fmac_f32 v137, 0xbf167918, v94 :: v_dual_fmac_f32 v140, 0xbf167918, v105
	s_delay_alu instid0(VALU_DEP_3) | instskip(NEXT) | instid1(VALU_DEP_3)
	v_add_f32_e32 v127, v88, v89
	v_fma_f32 v78, 0x3f167918, v136, -v78
	v_fmac_f32_e32 v139, 0x3f167918, v107
	v_fmac_f32_e32 v138, 0x3e9e377a, v128
	;; [unrolled: 1-line block ×3, first 2 shown]
	v_dual_fmac_f32 v6, 0x3e9e377a, v127 :: v_dual_mul_f32 v89, 0x3e9e377a, v73
	v_sub_f32_e32 v73, v123, v2
	v_add_f32_e32 v88, v119, v78
	v_sub_f32_e32 v109, v119, v78
	v_fmac_f32_e32 v139, 0x3e9e377a, v130
	v_fma_f32 v2, 0x3f737871, v46, -v89
	v_add_f32_e32 v46, v106, v38
	v_sub_f32_e32 v38, v71, v38
	s_delay_alu instid0(VALU_DEP_3) | instskip(SKIP_1) | instid1(VALU_DEP_4)
	v_add_f32_e32 v78, v6, v2
	v_sub_f32_e32 v6, v6, v2
	v_add_f32_e32 v2, v46, v42
	v_add_f32_e32 v46, v91, v31
	;; [unrolled: 1-line block ×3, first 2 shown]
	v_dual_add_f32 v97, v98, v35 :: v_dual_sub_f32 v42, v45, v42
	s_delay_alu instid0(VALU_DEP_4) | instskip(NEXT) | instid1(VALU_DEP_4)
	v_add_f32_e32 v2, v2, v45
	v_add_f32_e32 v46, v46, v32
	s_delay_alu instid0(VALU_DEP_4) | instskip(NEXT) | instid1(VALU_DEP_4)
	v_add_f32_e32 v71, v91, v44
	v_dual_add_f32 v91, v97, v37 :: v_dual_sub_f32 v44, v47, v44
	v_sub_f32_e32 v35, v34, v35
	s_delay_alu instid0(VALU_DEP_4) | instskip(NEXT) | instid1(VALU_DEP_4)
	v_add_f32_e32 v43, v46, v36
	v_add_f32_e32 v45, v71, v47
	s_delay_alu instid0(VALU_DEP_4) | instskip(SKIP_3) | instid1(VALU_DEP_4)
	v_dual_fmamk_f32 v47, v96, 0x3f737871, v112 :: v_dual_add_f32 v46, v91, v41
	v_sub_f32_e32 v37, v41, v37
	v_fmamk_f32 v41, v95, 0xbf737871, v115
	v_add_f32_e32 v44, v39, v44
	v_fmac_f32_e32 v47, 0x3f167918, v92
	s_delay_alu instid0(VALU_DEP_4) | instskip(NEXT) | instid1(VALU_DEP_4)
	v_dual_fmac_f32 v112, 0xbf737871, v96 :: v_dual_add_f32 v71, v35, v37
	v_fmac_f32_e32 v41, 0xbf167918, v93
	v_fmac_f32_e32 v115, 0x3f737871, v95
	s_delay_alu instid0(VALU_DEP_4) | instskip(NEXT) | instid1(VALU_DEP_4)
	v_fmac_f32_e32 v47, 0x3e9e377a, v44
	v_fmac_f32_e32 v112, 0xbf167918, v92
	s_delay_alu instid0(VALU_DEP_4)
	v_dual_add_f32 v42, v38, v42 :: v_dual_fmac_f32 v41, 0x3e9e377a, v71
	v_fmamk_f32 v38, v126, 0x3f737871, v124
	v_fmamk_f32 v39, v94, 0xbf737871, v162
	v_mul_f32_e32 v97, 0xbf167918, v47
	v_fmac_f32_e32 v115, 0x3f167918, v93
	v_fmac_f32_e32 v124, 0xbf737871, v126
	;; [unrolled: 1-line block ×3, first 2 shown]
	v_dual_fmac_f32 v112, 0x3e9e377a, v44 :: v_dual_sub_f32 v31, v40, v31
	v_sub_f32_e32 v32, v36, v32
	v_mul_f32_e32 v40, 0x3f167918, v41
	v_fmac_f32_e32 v39, 0xbf167918, v90
	v_fmac_f32_e32 v97, 0x3f4f1bbd, v41
	;; [unrolled: 1-line block ×5, first 2 shown]
	v_mul_f32_e32 v41, 0x3f4f1bbd, v112
	v_dual_sub_f32 v71, v33, v26 :: v_dual_sub_f32 v90, v30, v29
	v_add_f32_e32 v91, v31, v32
	v_add_f32_e32 v35, v43, v46
	v_sub_f32_e32 v32, v43, v46
	v_mul_f32_e32 v44, 0x3f4f1bbd, v115
	v_fmac_f32_e32 v124, 0x3e9e377a, v42
	v_fma_f32 v46, 0x3f167918, v115, -v41
	v_add_f32_e32 v71, v71, v90
	v_add_f32_e32 v90, v142, v26
	;; [unrolled: 1-line block ×3, first 2 shown]
	v_fmac_f32_e32 v38, 0x3f167918, v114
	v_dual_fmac_f32 v40, 0x3f4f1bbd, v47 :: v_dual_sub_f32 v31, v2, v45
	v_mul_f32_e32 v2, 0x3f737871, v116
	v_fma_f32 v47, 0xbf167918, v112, -v44
	v_add_f32_e32 v44, v124, v46
	v_sub_f32_e32 v46, v124, v46
	v_dual_fmac_f32 v121, 0x3f167918, v126 :: v_dual_sub_f32 v26, v26, v33
	v_sub_f32_e32 v33, v29, v30
	v_dual_add_f32 v29, v90, v29 :: v_dual_fmac_f32 v38, 0x3e9e377a, v42
	v_fmac_f32_e32 v2, 0x3e9e377a, v118
	v_sub_f32_e32 v92, v18, v19
	v_add_f32_e32 v89, v122, v110
	s_delay_alu instid0(VALU_DEP_4) | instskip(SKIP_3) | instid1(VALU_DEP_3)
	v_add_f32_e32 v29, v29, v30
	v_dual_fmac_f32 v121, 0x3e9e377a, v127 :: v_dual_add_f32 v36, v38, v40
	v_sub_f32_e32 v38, v38, v40
	v_fmac_f32_e32 v162, 0x3e9e377a, v91
	v_dual_fmamk_f32 v93, v92, 0xbf737871, v0 :: v_dual_add_f32 v40, v121, v2
	v_sub_f32_e32 v42, v121, v2
	v_sub_f32_e32 v2, v24, v22
	v_fmac_f32_e32 v0, 0x3f737871, v92
	s_wait_alu 0xf1ff
	v_cndmask_b32_e64 v30, 0, 0x1770, s0
	v_add_f32_e32 v45, v162, v47
	v_dual_add_f32 v26, v26, v33 :: v_dual_fmac_f32 v93, 0x3f167918, v2
	v_fmac_f32_e32 v0, 0xbf167918, v2
	s_delay_alu instid0(VALU_DEP_4)
	v_add3_u32 v13, 0, v30, v13
	v_sub_f32_e32 v47, v162, v47
	ds_store_2addr_b64 v13, v[4:5], v[80:81] offset1:75
	ds_store_2addr_b64 v13, v[84:85], v[86:87] offset0:150 offset1:225
	v_add_nc_u32_e32 v4, 0x800, v13
	v_dual_fmac_f32 v0, 0x3e9e377a, v26 :: v_dual_fmac_f32 v39, 0x3e9e377a, v91
	v_fmamk_f32 v91, v2, 0x3f737871, v132
	v_mul_u32_u24_e32 v5, 0x1770, v10
	v_lshlrev_b32_e32 v10, 3, v12
	v_fmac_f32_e32 v132, 0xbf737871, v2
	v_add_f32_e32 v2, v99, v18
	ds_store_2addr_b64 v4, v[88:89], v[76:77] offset0:44 offset1:119
	v_sub_f32_e32 v18, v24, v18
	v_add3_u32 v4, 0, v5, v10
	v_mul_u32_u24_e32 v5, 0x1770, v9
	v_lshlrev_b32_e32 v9, 3, v11
	v_add_f32_e32 v2, v2, v19
	v_fmamk_f32 v24, v108, 0xbf737871, v120
	v_fmac_f32_e32 v120, 0x3f737871, v108
	v_fmac_f32_e32 v91, 0x3f167918, v92
	v_add3_u32 v5, 0, v5, v9
	v_sub_f32_e32 v19, v22, v19
	v_add_f32_e32 v22, v2, v22
	v_fmac_f32_e32 v24, 0xbf167918, v104
	v_fmac_f32_e32 v120, 0x3f167918, v104
	s_delay_alu instid0(VALU_DEP_4) | instskip(SKIP_4) | instid1(VALU_DEP_3)
	v_dual_fmac_f32 v93, 0x3e9e377a, v26 :: v_dual_add_f32 v2, v18, v19
	v_sub_f32_e32 v19, v21, v25
	v_sub_f32_e32 v21, v28, v27
	v_dual_add_f32 v18, v100, v25 :: v_dual_fmamk_f32 v25, v107, 0x3f737871, v129
	v_fmac_f32_e32 v129, 0xbf737871, v107
	v_dual_fmac_f32 v24, 0x3e9e377a, v2 :: v_dual_add_f32 v19, v19, v21
	v_fmac_f32_e32 v120, 0x3e9e377a, v2
	v_sub_f32_e32 v2, v14, v15
	v_dual_sub_f32 v14, v20, v16 :: v_dual_fmamk_f32 v21, v105, 0xbf737871, v125
	v_add_f32_e32 v15, v101, v15
	v_fmac_f32_e32 v25, 0x3f167918, v103
	s_delay_alu instid0(VALU_DEP_3) | instskip(NEXT) | instid1(VALU_DEP_3)
	v_dual_fmac_f32 v129, 0xbf167918, v103 :: v_dual_add_f32 v2, v2, v14
	v_dual_fmac_f32 v21, 0xbf167918, v102 :: v_dual_add_f32 v14, v15, v16
	s_delay_alu instid0(VALU_DEP_3) | instskip(NEXT) | instid1(VALU_DEP_3)
	v_fmac_f32_e32 v25, 0x3e9e377a, v19
	v_fmac_f32_e32 v129, 0x3e9e377a, v19
	v_fmac_f32_e32 v125, 0x3f737871, v105
	s_delay_alu instid0(VALU_DEP_4) | instskip(SKIP_1) | instid1(VALU_DEP_3)
	v_fmac_f32_e32 v21, 0x3e9e377a, v2
	v_dual_add_f32 v19, v14, v20 :: v_dual_mul_f32 v14, 0x3e9e377a, v23
	v_dual_add_f32 v18, v18, v27 :: v_dual_fmac_f32 v125, 0x3f167918, v102
	s_delay_alu instid0(VALU_DEP_3) | instskip(SKIP_1) | instid1(VALU_DEP_4)
	v_mul_f32_e32 v20, 0x3f167918, v21
	v_mul_f32_e32 v23, 0xbf167918, v25
	v_fma_f32 v14, 0x3f737871, v17, -v14
	s_delay_alu instid0(VALU_DEP_4) | instskip(SKIP_2) | instid1(VALU_DEP_4)
	v_dual_add_f32 v18, v18, v28 :: v_dual_fmac_f32 v125, 0x3e9e377a, v2
	v_mul_f32_e32 v26, 0x3f737871, v140
	v_fmac_f32_e32 v20, 0x3f4f1bbd, v25
	v_dual_add_f32 v2, v0, v14 :: v_dual_add_f32 v37, v39, v97
	v_add_nc_u32_e32 v12, 0xc00, v13
	v_fmac_f32_e32 v91, 0x3e9e377a, v71
	v_mul_f32_e32 v43, 0xbf737871, v118
	v_dual_sub_f32 v39, v39, v97 :: v_dual_fmac_f32 v26, 0x3e9e377a, v139
	v_dual_fmac_f32 v137, 0x3e9e377a, v111 :: v_dual_sub_f32 v16, v29, v18
	v_fmac_f32_e32 v132, 0xbf167918, v92
	v_fmac_f32_e32 v23, 0x3f4f1bbd, v21
	v_dual_mul_f32 v25, 0xbf737871, v139 :: v_dual_sub_f32 v0, v0, v14
	v_dual_add_f32 v14, v29, v18 :: v_dual_mul_f32 v21, 0x3f4f1bbd, v129
	v_add_f32_e32 v18, v91, v20
	v_sub_f32_e32 v20, v91, v20
	v_fmac_f32_e32 v43, 0x3e9e377a, v116
	v_dual_mul_f32 v27, 0x3f4f1bbd, v125 :: v_dual_sub_f32 v110, v122, v110
	v_add_nc_u32_e32 v13, 0x1000, v13
	v_dual_fmac_f32 v132, 0x3e9e377a, v71 :: v_dual_fmac_f32 v25, 0x3e9e377a, v140
	v_add_f32_e32 v15, v22, v19
	v_sub_f32_e32 v17, v22, v19
	v_fma_f32 v28, 0x3f167918, v125, -v21
	v_add_f32_e32 v19, v24, v23
	v_dual_sub_f32 v21, v24, v23 :: v_dual_sub_f32 v24, v93, v26
	v_add_f32_e32 v41, v137, v43
	v_fma_f32 v29, 0xbf167918, v129, -v27
	v_dual_sub_f32 v43, v137, v43 :: v_dual_add_nc_u32 v10, 0x800, v4
	v_add_nc_u32_e32 v11, 0xc00, v4
	ds_store_2addr_b64 v12, v[82:83], v[74:75] offset0:66 offset1:141
	ds_store_2addr_b64 v13, v[72:73], v[109:110] offset0:88 offset1:163
	v_add_nc_u32_e32 v12, 0x1000, v4
	v_dual_add_f32 v22, v93, v26 :: v_dual_add_f32 v23, v138, v25
	v_add_f32_e32 v26, v132, v28
	v_sub_f32_e32 v28, v132, v28
	ds_store_2addr_b64 v4, v[34:35], v[36:37] offset1:75
	ds_store_2addr_b64 v4, v[40:41], v[78:79] offset0:150 offset1:225
	ds_store_2addr_b64 v10, v[44:45], v[31:32] offset0:44 offset1:119
	;; [unrolled: 1-line block ×4, first 2 shown]
	ds_store_2addr_b64 v5, v[14:15], v[18:19] offset1:75
	v_lshlrev_b32_e32 v7, 2, v48
	v_add_f32_e32 v27, v120, v29
	v_add_nc_u32_e32 v4, 0x800, v5
	v_sub_f32_e32 v25, v138, v25
	v_add_nc_u32_e32 v6, 0xc00, v5
	ds_store_2addr_b64 v5, v[22:23], v[2:3] offset0:150 offset1:225
	ds_store_2addr_b64 v4, v[26:27], v[16:17] offset0:44 offset1:119
	v_lshlrev_b64_e32 v[2:3], 3, v[7:8]
	v_lshlrev_b32_e32 v7, 2, v66
	v_sub_f32_e32 v29, v120, v29
	v_add_nc_u32_e32 v9, 0x1000, v5
	ds_store_2addr_b64 v6, v[20:21], v[24:25] offset0:66 offset1:141
	ds_store_2addr_b64 v9, v[0:1], v[28:29] offset0:88 offset1:163
	v_lshlrev_b64_e32 v[6:7], 3, v[7:8]
	v_add_co_u32 v4, s0, s4, v2
	s_wait_alu 0xf1ff
	v_add_co_ci_u32_e64 v5, s0, s5, v3, s0
	global_wb scope:SCOPE_SE
	s_wait_dscnt 0x0
	v_add_co_u32 v17, s0, s4, v6
	s_wait_alu 0xf1ff
	v_add_co_ci_u32_e64 v18, s0, s5, v7, s0
	s_barrier_signal -1
	s_barrier_wait -1
	global_inv scope:SCOPE_SE
	s_clause 0x2
	global_load_b128 v[0:3], v[4:5], off offset:5976
	global_load_b128 v[9:12], v[17:18], off offset:5976
	global_load_b128 v[13:16], v[4:5], off offset:5992
	v_lshlrev_b32_e32 v7, 2, v68
	global_load_b128 v[17:20], v[17:18], off offset:5992
	v_lshlrev_b64_e32 v[4:5], 3, v[7:8]
	v_lshlrev_b32_e32 v7, 2, v67
	s_delay_alu instid0(VALU_DEP_2) | instskip(NEXT) | instid1(VALU_DEP_2)
	v_add_co_u32 v4, s0, s4, v4
	v_lshlrev_b64_e32 v[6:7], 3, v[7:8]
	s_wait_alu 0xf1ff
	s_delay_alu instid0(VALU_DEP_4) | instskip(NEXT) | instid1(VALU_DEP_2)
	v_add_co_ci_u32_e64 v5, s0, s5, v5, s0
	v_add_co_u32 v33, s0, s4, v6
	global_load_b128 v[21:24], v[4:5], off offset:5976
	s_wait_alu 0xf1ff
	v_add_co_ci_u32_e64 v34, s0, s5, v7, s0
	s_clause 0x1
	global_load_b128 v[25:28], v[33:34], off offset:5976
	global_load_b128 v[29:32], v[4:5], off offset:5992
	v_lshlrev_b32_e32 v7, 2, v69
	global_load_b128 v[33:36], v[33:34], off offset:5992
	v_lshlrev_b64_e32 v[4:5], 3, v[7:8]
	v_lshlrev_b32_e32 v7, 2, v70
	s_delay_alu instid0(VALU_DEP_2) | instskip(NEXT) | instid1(VALU_DEP_2)
	v_add_co_u32 v4, s0, s4, v4
	v_lshlrev_b64_e32 v[37:38], 3, v[7:8]
	s_wait_alu 0xf1ff
	s_delay_alu instid0(VALU_DEP_4) | instskip(NEXT) | instid1(VALU_DEP_2)
	v_add_co_ci_u32_e64 v5, s0, s5, v5, s0
	v_add_co_u32 v37, s0, s4, v37
	global_load_b128 v[39:42], v[4:5], off offset:5976
	s_wait_alu 0xf1ff
	v_add_co_ci_u32_e64 v38, s0, s5, v38, s0
	s_clause 0x2
	global_load_b128 v[4:7], v[4:5], off offset:5992
	global_load_b128 v[66:69], v[37:38], off offset:5976
	;; [unrolled: 1-line block ×3, first 2 shown]
	ds_load_2addr_b64 v[43:46], v61 offset0:110 offset1:235
	ds_load_2addr_b64 v[74:77], v59 offset0:92 offset1:217
	;; [unrolled: 1-line block ×5, first 2 shown]
	s_wait_loadcnt_dscnt 0xb04
	v_mul_f32_e32 v37, v1, v44
	s_wait_loadcnt_dscnt 0x901
	v_dual_mul_f32 v98, v82, v16 :: v_dual_mul_f32 v47, v1, v43
	v_mul_f32_e32 v90, v3, v74
	v_mul_f32_e32 v97, v14, v78
	v_fma_f32 v91, v0, v43, -v37
	s_delay_alu instid0(VALU_DEP_4) | instskip(SKIP_4) | instid1(VALU_DEP_4)
	v_fmac_f32_e32 v98, v83, v15
	v_mul_f32_e32 v1, v3, v75
	v_dual_fmac_f32 v47, v0, v44 :: v_dual_fmac_f32 v90, v2, v75
	v_mul_f32_e32 v37, v46, v10
	v_mul_f32_e32 v93, v45, v10
	v_fma_f32 v92, v2, v74, -v1
	ds_load_2addr_b64 v[0:3], v64 offset0:104 offset1:229
	v_mul_f32_e32 v10, v77, v12
	v_fma_f32 v94, v45, v9, -v37
	v_dual_mul_f32 v37, v14, v79 :: v_dual_mul_f32 v14, v83, v16
	v_mul_f32_e32 v95, v76, v12
	v_fmac_f32_e32 v97, v13, v79
	v_fmac_f32_e32 v93, v46, v9
	s_delay_alu instid0(VALU_DEP_4)
	v_fma_f32 v78, v13, v78, -v37
	v_fma_f32 v79, v82, v15, -v14
	s_wait_loadcnt 0x8
	v_mul_f32_e32 v13, v81, v18
	v_mul_f32_e32 v82, v80, v18
	;; [unrolled: 1-line block ×3, first 2 shown]
	v_fma_f32 v96, v76, v11, -v10
	v_mul_f32_e32 v83, v84, v20
	v_fma_f32 v80, v80, v17, -v13
	v_fmac_f32_e32 v95, v77, v11
	ds_load_2addr_b64 v[9:12], v54 offset0:68 offset1:193
	v_fmac_f32_e32 v82, v81, v17
	v_fma_f32 v81, v84, v19, -v18
	s_wait_loadcnt_dscnt 0x701
	v_mul_f32_e32 v37, v1, v22
	v_dual_mul_f32 v84, v0, v22 :: v_dual_fmac_f32 v83, v85, v19
	v_mul_f32_e32 v22, v87, v24
	v_mul_f32_e32 v85, v86, v24
	ds_load_2addr_b64 v[17:20], v49 offset0:98 offset1:223
	v_fma_f32 v99, v0, v21, -v37
	v_fmac_f32_e32 v84, v1, v21
	s_wait_loadcnt 0x6
	v_mul_f32_e32 v0, v3, v26
	v_mul_f32_e32 v45, v2, v26
	;; [unrolled: 1-line block ×4, first 2 shown]
	ds_load_2addr_b64 v[13:16], v63 offset0:50 offset1:175
	v_fma_f32 v86, v86, v23, -v22
	v_fmac_f32_e32 v85, v87, v23
	v_fma_f32 v87, v2, v25, -v0
	v_fmac_f32_e32 v45, v3, v25
	v_fma_f32 v88, v88, v27, -v21
	ds_load_2addr_b64 v[21:24], v57 offset0:80 offset1:205
	v_fmac_f32_e32 v46, v89, v27
	ds_load_2addr_b64 v[25:28], v53 offset0:62 offset1:187
	ds_load_2addr_b64 v[74:77], v62 offset0:44 offset1:169
	s_wait_loadcnt_dscnt 0x505
	v_mul_f32_e32 v1, v10, v30
	v_mul_f32_e32 v100, v9, v30
	s_wait_loadcnt_dscnt 0x304
	v_dual_mul_f32 v102, v11, v34 :: v_dual_mul_f32 v37, v17, v40
	s_delay_alu instid0(VALU_DEP_3) | instskip(SKIP_2) | instid1(VALU_DEP_4)
	v_fma_f32 v89, v9, v29, -v1
	v_mul_f32_e32 v9, v18, v40
	v_fmac_f32_e32 v100, v10, v29
	v_dual_fmac_f32 v37, v18, v39 :: v_dual_fmac_f32 v102, v12, v33
	s_wait_dscnt 0x3
	v_mul_f32_e32 v0, v14, v32
	v_fma_f32 v44, v17, v39, -v9
	v_mul_f32_e32 v104, v15, v36
	s_wait_loadcnt 0x1
	v_mul_f32_e32 v29, v19, v67
	v_fma_f32 v103, v13, v31, -v0
	s_wait_dscnt 0x2
	v_mul_f32_e32 v10, v22, v42
	s_wait_dscnt 0x1
	v_dual_mul_f32 v38, v21, v42 :: v_dual_mul_f32 v9, v26, v5
	v_mul_f32_e32 v39, v25, v5
	s_wait_dscnt 0x0
	v_mul_f32_e32 v5, v75, v7
	v_mul_f32_e32 v30, v23, v69
	;; [unrolled: 1-line block ×3, first 2 shown]
	v_fma_f32 v43, v21, v41, -v10
	v_fmac_f32_e32 v38, v22, v41
	v_fma_f32 v41, v74, v6, -v5
	v_mul_f32_e32 v5, v24, v69
	v_fmac_f32_e32 v30, v24, v68
	v_add_f32_e32 v22, v96, v80
	v_sub_f32_e32 v24, v95, v82
	v_mul_f32_e32 v1, v12, v34
	v_fma_f32 v106, v15, v35, -v0
	v_mul_f32_e32 v101, v13, v32
	v_fma_f32 v42, v25, v4, -v9
	v_fmac_f32_e32 v39, v26, v4
	v_fma_f32 v105, v11, v33, -v1
	ds_load_2addr_b64 v[0:3], v52 offset1:125
	v_mul_f32_e32 v4, v20, v67
	v_fmac_f32_e32 v101, v14, v31
	v_mul_f32_e32 v40, v74, v7
	v_fma_f32 v33, v23, v68, -v5
	v_add_f32_e32 v5, v92, v78
	v_fma_f32 v31, v19, v66, -v4
	s_wait_loadcnt 0x0
	v_mul_f32_e32 v4, v28, v71
	v_fmac_f32_e32 v40, v75, v6
	v_fmac_f32_e32 v104, v16, v35
	v_sub_f32_e32 v12, v47, v98
	v_add_f32_e32 v7, v91, v79
	v_fma_f32 v36, v27, v70, -v4
	v_mul_f32_e32 v4, v77, v73
	v_sub_f32_e32 v10, v90, v97
	v_sub_f32_e32 v16, v92, v91
	v_dual_sub_f32 v17, v78, v79 :: v_dual_sub_f32 v68, v103, v89
	s_delay_alu instid0(VALU_DEP_4)
	v_fma_f32 v35, v76, v72, -v4
	s_wait_dscnt 0x0
	v_dual_add_f32 v19, v90, v97 :: v_dual_add_f32 v6, v0, v91
	v_fma_f32 v9, -0.5, v5, v0
	v_fma_f32 v0, -0.5, v7, v0
	v_dual_add_f32 v18, v1, v47 :: v_dual_fmac_f32 v29, v20, v66
	s_delay_alu instid0(VALU_DEP_3) | instskip(SKIP_1) | instid1(VALU_DEP_2)
	v_dual_add_f32 v4, v6, v92 :: v_dual_fmamk_f32 v11, v12, 0x3f737871, v9
	v_dual_add_f32 v66, v86, v89 :: v_dual_fmac_f32 v9, 0xbf737871, v12
	v_dual_mul_f32 v34, v27, v71 :: v_dual_add_f32 v13, v4, v78
	s_delay_alu instid0(VALU_DEP_3) | instskip(NEXT) | instid1(VALU_DEP_3)
	v_dual_fmac_f32 v11, 0x3f167918, v10 :: v_dual_add_f32 v16, v16, v17
	v_fmac_f32_e32 v9, 0xbf167918, v10
	v_add_f32_e32 v17, v18, v90
	s_delay_alu instid0(VALU_DEP_4)
	v_add_f32_e32 v15, v13, v79
	v_fmamk_f32 v13, v10, 0xbf737871, v0
	v_fmac_f32_e32 v0, 0x3f737871, v10
	v_fma_f32 v10, -0.5, v19, v1
	v_sub_f32_e32 v18, v91, v79
	v_fmac_f32_e32 v34, v28, v70
	v_dual_sub_f32 v6, v79, v78 :: v_dual_fmac_f32 v13, 0x3f167918, v12
	v_fmac_f32_e32 v0, 0xbf167918, v12
	s_delay_alu instid0(VALU_DEP_4)
	v_fmamk_f32 v12, v18, 0xbf737871, v10
	v_fmac_f32_e32 v10, 0x3f737871, v18
	v_dual_sub_f32 v28, v93, v95 :: v_dual_sub_f32 v5, v91, v92
	v_sub_f32_e32 v19, v92, v78
	v_fmac_f32_e32 v13, 0x3e9e377a, v16
	v_fmac_f32_e32 v0, 0x3e9e377a, v16
	v_add_f32_e32 v26, v94, v81
	v_add_f32_e32 v14, v5, v6
	ds_load_2addr_b64 v[4:7], v56 offset0:122 offset1:247
	v_fmac_f32_e32 v12, 0xbf167918, v19
	v_sub_f32_e32 v20, v47, v90
	v_fmac_f32_e32 v10, 0x3f167918, v19
	v_fmac_f32_e32 v11, 0x3e9e377a, v14
	v_dual_fmac_f32 v9, 0x3e9e377a, v14 :: v_dual_add_f32 v14, v17, v97
	v_add_f32_e32 v17, v47, v98
	v_dual_add_f32 v23, v2, v94 :: v_dual_mul_f32 v32, v76, v73
	v_add_f32_e32 v27, v95, v82
	s_delay_alu instid0(VALU_DEP_4) | instskip(NEXT) | instid1(VALU_DEP_4)
	v_add_f32_e32 v16, v14, v98
	v_fma_f32 v1, -0.5, v17, v1
	v_sub_f32_e32 v17, v90, v47
	v_add_f32_e32 v69, v99, v103
	v_dual_sub_f32 v67, v99, v86 :: v_dual_fmac_f32 v32, v77, v72
	s_delay_alu instid0(VALU_DEP_4) | instskip(SKIP_1) | instid1(VALU_DEP_3)
	v_fmamk_f32 v14, v19, 0x3f737871, v1
	v_fmac_f32_e32 v1, 0xbf737871, v19
	v_add_f32_e32 v67, v67, v68
	s_wait_dscnt 0x0
	v_add_f32_e32 v68, v5, v84
	v_dual_fmac_f32 v14, 0xbf167918, v18 :: v_dual_sub_f32 v21, v98, v97
	s_delay_alu instid0(VALU_DEP_1) | instskip(NEXT) | instid1(VALU_DEP_1)
	v_dual_fmac_f32 v1, 0x3f167918, v18 :: v_dual_add_f32 v20, v20, v21
	v_dual_sub_f32 v21, v97, v98 :: v_dual_fmac_f32 v12, 0x3e9e377a, v20
	s_delay_alu instid0(VALU_DEP_1)
	v_add_f32_e32 v21, v17, v21
	v_fma_f32 v17, -0.5, v22, v2
	v_fma_f32 v2, -0.5, v26, v2
	v_fmac_f32_e32 v10, 0x3e9e377a, v20
	v_add_f32_e32 v20, v23, v96
	v_sub_f32_e32 v22, v93, v83
	v_fmac_f32_e32 v14, 0x3e9e377a, v21
	v_fmac_f32_e32 v1, 0x3e9e377a, v21
	v_fmamk_f32 v21, v24, 0xbf737871, v2
	v_fmac_f32_e32 v2, 0x3f737871, v24
	v_add_f32_e32 v18, v20, v80
	v_sub_f32_e32 v71, v84, v85
	v_fmamk_f32 v19, v22, 0x3f737871, v17
	s_delay_alu instid0(VALU_DEP_4) | instskip(SKIP_2) | instid1(VALU_DEP_4)
	v_dual_sub_f32 v23, v94, v96 :: v_dual_fmac_f32 v2, 0xbf167918, v22
	v_sub_f32_e32 v73, v101, v100
	v_dual_fmac_f32 v17, 0xbf737871, v22 :: v_dual_add_f32 v26, v3, v93
	v_fmac_f32_e32 v19, 0x3f167918, v24
	v_fmac_f32_e32 v21, 0x3f167918, v22
	s_delay_alu instid0(VALU_DEP_4) | instskip(SKIP_3) | instid1(VALU_DEP_3)
	v_add_f32_e32 v75, v71, v73
	v_sub_f32_e32 v25, v81, v80
	v_dual_fmac_f32 v17, 0xbf167918, v24 :: v_dual_add_f32 v24, v26, v95
	v_dual_sub_f32 v26, v94, v81 :: v_dual_sub_f32 v47, v83, v82
	v_add_f32_e32 v20, v23, v25
	v_dual_add_f32 v23, v18, v81 :: v_dual_sub_f32 v18, v96, v94
	v_sub_f32_e32 v25, v80, v81
	v_add_f32_e32 v22, v24, v82
	s_delay_alu instid0(VALU_DEP_4) | instskip(SKIP_1) | instid1(VALU_DEP_4)
	v_dual_add_f32 v24, v93, v83 :: v_dual_fmac_f32 v19, 0x3e9e377a, v20
	v_fmac_f32_e32 v17, 0x3e9e377a, v20
	v_add_f32_e32 v25, v18, v25
	v_fma_f32 v18, -0.5, v27, v3
	v_sub_f32_e32 v27, v96, v80
	v_dual_fmac_f32 v3, -0.5, v24 :: v_dual_add_f32 v28, v28, v47
	s_delay_alu instid0(VALU_DEP_4) | instskip(NEXT) | instid1(VALU_DEP_4)
	v_fmac_f32_e32 v21, 0x3e9e377a, v25
	v_fmamk_f32 v20, v26, 0xbf737871, v18
	v_fmac_f32_e32 v2, 0x3e9e377a, v25
	v_dual_fmac_f32 v18, 0x3f737871, v26 :: v_dual_sub_f32 v25, v95, v93
	v_dual_sub_f32 v47, v82, v83 :: v_dual_add_f32 v80, v45, v104
	v_add_f32_e32 v24, v22, v83
	v_fmac_f32_e32 v20, 0xbf167918, v27
	v_fmamk_f32 v22, v27, 0x3f737871, v3
	v_fmac_f32_e32 v18, 0x3f167918, v27
	v_dual_add_f32 v47, v25, v47 :: v_dual_sub_f32 v82, v87, v106
	v_fmac_f32_e32 v3, 0xbf737871, v27
	v_add_f32_e32 v27, v4, v99
	v_fma_f32 v25, -0.5, v66, v4
	v_sub_f32_e32 v66, v84, v101
	v_fmac_f32_e32 v20, 0x3e9e377a, v28
	v_fmac_f32_e32 v22, 0xbf167918, v26
	;; [unrolled: 1-line block ×4, first 2 shown]
	v_dual_add_f32 v26, v27, v86 :: v_dual_fmamk_f32 v27, v66, 0x3f737871, v25
	v_dual_sub_f32 v28, v85, v100 :: v_dual_fmac_f32 v25, 0xbf737871, v66
	v_fma_f32 v4, -0.5, v69, v4
	s_delay_alu instid0(VALU_DEP_3) | instskip(SKIP_1) | instid1(VALU_DEP_4)
	v_add_f32_e32 v26, v26, v89
	v_fmac_f32_e32 v22, 0x3e9e377a, v47
	v_fmac_f32_e32 v27, 0x3f167918, v28
	;; [unrolled: 1-line block ×3, first 2 shown]
	v_fmamk_f32 v72, v28, 0xbf737871, v4
	v_fmac_f32_e32 v4, 0x3f737871, v28
	v_fmac_f32_e32 v3, 0x3e9e377a, v47
	v_add_f32_e32 v70, v26, v103
	v_dual_fmac_f32 v27, 0x3e9e377a, v67 :: v_dual_add_f32 v26, v85, v100
	v_fmac_f32_e32 v25, 0x3e9e377a, v67
	v_sub_f32_e32 v47, v86, v99
	v_dual_sub_f32 v67, v89, v103 :: v_dual_fmac_f32 v72, 0x3f167918, v66
	v_fmac_f32_e32 v4, 0xbf167918, v66
	v_add_f32_e32 v66, v84, v101
	v_fma_f32 v26, -0.5, v26, v5
	s_delay_alu instid0(VALU_DEP_4) | instskip(SKIP_4) | instid1(VALU_DEP_4)
	v_add_f32_e32 v47, v47, v67
	v_add_f32_e32 v67, v68, v85
	v_sub_f32_e32 v68, v86, v89
	v_fma_f32 v5, -0.5, v66, v5
	v_sub_f32_e32 v69, v99, v103
	v_dual_fmac_f32 v72, 0x3e9e377a, v47 :: v_dual_add_f32 v67, v67, v100
	v_fmac_f32_e32 v4, 0x3e9e377a, v47
	s_delay_alu instid0(VALU_DEP_4)
	v_fmamk_f32 v73, v68, 0x3f737871, v5
	v_dual_sub_f32 v47, v85, v84 :: v_dual_sub_f32 v66, v100, v101
	v_dual_fmac_f32 v5, 0xbf737871, v68 :: v_dual_fmamk_f32 v28, v69, 0xbf737871, v26
	v_add_f32_e32 v71, v67, v101
	v_fmac_f32_e32 v26, 0x3f737871, v69
	v_add_f32_e32 v67, v88, v105
	v_fmac_f32_e32 v73, 0xbf167918, v69
	v_add_f32_e32 v47, v47, v66
	v_dual_fmac_f32 v5, 0x3f167918, v69 :: v_dual_add_f32 v66, v6, v87
	v_fmac_f32_e32 v28, 0xbf167918, v68
	v_fmac_f32_e32 v26, 0x3f167918, v68
	v_fma_f32 v74, -0.5, v67, v6
	v_sub_f32_e32 v67, v45, v104
	v_fmac_f32_e32 v73, 0x3e9e377a, v47
	v_fmac_f32_e32 v5, 0x3e9e377a, v47
	v_dual_add_f32 v47, v66, v88 :: v_dual_add_f32 v66, v87, v106
	v_fmac_f32_e32 v28, 0x3e9e377a, v75
	v_fmac_f32_e32 v26, 0x3e9e377a, v75
	v_fmamk_f32 v76, v67, 0x3f737871, v74
	v_dual_sub_f32 v68, v46, v102 :: v_dual_sub_f32 v69, v87, v88
	v_dual_sub_f32 v75, v106, v105 :: v_dual_fmac_f32 v74, 0xbf737871, v67
	v_fma_f32 v6, -0.5, v66, v6
	s_delay_alu instid0(VALU_DEP_3) | instskip(NEXT) | instid1(VALU_DEP_3)
	v_dual_fmac_f32 v76, 0x3f167918, v68 :: v_dual_add_f32 v77, v7, v45
	v_add_f32_e32 v66, v69, v75
	s_delay_alu instid0(VALU_DEP_4) | instskip(NEXT) | instid1(VALU_DEP_4)
	v_fmac_f32_e32 v74, 0xbf167918, v68
	v_fmamk_f32 v78, v68, 0xbf737871, v6
	v_dual_fmac_f32 v6, 0x3f737871, v68 :: v_dual_sub_f32 v69, v88, v87
	v_sub_f32_e32 v75, v105, v106
	v_fmac_f32_e32 v76, 0x3e9e377a, v66
	v_fmac_f32_e32 v74, 0x3e9e377a, v66
	;; [unrolled: 1-line block ×4, first 2 shown]
	v_add_f32_e32 v66, v46, v102
	v_sub_f32_e32 v67, v45, v46
	v_dual_sub_f32 v68, v104, v102 :: v_dual_add_f32 v79, v69, v75
	v_sub_f32_e32 v83, v88, v105
	s_delay_alu instid0(VALU_DEP_4) | instskip(NEXT) | instid1(VALU_DEP_3)
	v_fma_f32 v75, -0.5, v66, v7
	v_dual_add_f32 v81, v77, v46 :: v_dual_add_f32 v84, v67, v68
	ds_load_2addr_b64 v[66:69], v55 offset0:116 offset1:241
	v_add_f32_e32 v47, v47, v105
	v_fmamk_f32 v77, v82, 0xbf737871, v75
	v_fmac_f32_e32 v75, 0x3f737871, v82
	v_dual_fmac_f32 v7, -0.5, v80 :: v_dual_sub_f32 v46, v46, v45
	s_delay_alu instid0(VALU_DEP_3) | instskip(NEXT) | instid1(VALU_DEP_3)
	v_dual_add_f32 v80, v47, v106 :: v_dual_fmac_f32 v77, 0xbf167918, v83
	v_fmac_f32_e32 v75, 0x3f167918, v83
	v_dual_add_f32 v47, v81, v102 :: v_dual_add_f32 v86, v44, v41
	s_delay_alu instid0(VALU_DEP_3) | instskip(NEXT) | instid1(VALU_DEP_3)
	v_dual_fmac_f32 v78, 0x3e9e377a, v79 :: v_dual_fmac_f32 v77, 0x3e9e377a, v84
	v_fmac_f32_e32 v75, 0x3e9e377a, v84
	v_sub_f32_e32 v84, v102, v104
	v_fmac_f32_e32 v6, 0x3e9e377a, v79
	v_fmamk_f32 v79, v83, 0x3f737871, v7
	v_add_f32_e32 v81, v47, v104
	v_add_f32_e32 v47, v43, v42
	v_fmac_f32_e32 v7, 0xbf737871, v83
	v_sub_f32_e32 v83, v44, v43
	v_dual_sub_f32 v85, v41, v42 :: v_dual_add_f32 v46, v46, v84
	v_sub_f32_e32 v87, v38, v39
	s_wait_dscnt 0x0
	v_fma_f32 v84, -0.5, v86, v66
	v_fmac_f32_e32 v79, 0xbf167918, v82
	v_fma_f32 v45, -0.5, v47, v66
	v_sub_f32_e32 v47, v37, v40
	v_fmac_f32_e32 v7, 0x3f167918, v82
	v_add_f32_e32 v83, v83, v85
	v_dual_sub_f32 v85, v43, v44 :: v_dual_sub_f32 v88, v42, v41
	v_fmamk_f32 v86, v87, 0xbf737871, v84
	v_fmac_f32_e32 v84, 0x3f737871, v87
	v_fmac_f32_e32 v79, 0x3e9e377a, v46
	;; [unrolled: 1-line block ×3, first 2 shown]
	s_delay_alu instid0(VALU_DEP_4) | instskip(NEXT) | instid1(VALU_DEP_4)
	v_dual_add_f32 v85, v85, v88 :: v_dual_fmac_f32 v86, 0x3f167918, v47
	v_fmac_f32_e32 v84, 0xbf167918, v47
	v_add_f32_e32 v46, v66, v44
	v_fmamk_f32 v82, v47, 0x3f737871, v45
	v_fmac_f32_e32 v45, 0xbf737871, v47
	v_fmac_f32_e32 v86, 0x3e9e377a, v85
	s_delay_alu instid0(VALU_DEP_4) | instskip(SKIP_2) | instid1(VALU_DEP_3)
	v_dual_fmac_f32 v84, 0x3e9e377a, v85 :: v_dual_add_f32 v85, v46, v43
	v_dual_add_f32 v47, v38, v39 :: v_dual_add_f32 v66, v67, v37
	v_dual_sub_f32 v43, v43, v42 :: v_dual_fmac_f32 v82, 0x3f167918, v87
	v_add_f32_e32 v42, v85, v42
	v_add_f32_e32 v85, v37, v40
	v_fmac_f32_e32 v45, 0xbf167918, v87
	v_fma_f32 v46, -0.5, v47, v67
	v_dual_sub_f32 v44, v44, v41 :: v_dual_add_f32 v47, v66, v38
	v_dual_sub_f32 v66, v37, v38 :: v_dual_sub_f32 v87, v40, v39
	v_fma_f32 v85, -0.5, v85, v67
	v_fmac_f32_e32 v82, 0x3e9e377a, v83
	v_fmac_f32_e32 v45, 0x3e9e377a, v83
	s_delay_alu instid0(VALU_DEP_4) | instskip(NEXT) | instid1(VALU_DEP_4)
	v_dual_fmamk_f32 v83, v44, 0xbf737871, v46 :: v_dual_add_f32 v66, v66, v87
	v_dual_fmac_f32 v46, 0x3f737871, v44 :: v_dual_fmamk_f32 v87, v43, 0x3f737871, v85
	v_fmac_f32_e32 v85, 0xbf737871, v43
	v_add_f32_e32 v47, v47, v39
	s_delay_alu instid0(VALU_DEP_4) | instskip(NEXT) | instid1(VALU_DEP_4)
	v_fmac_f32_e32 v83, 0xbf167918, v43
	v_dual_fmac_f32 v46, 0x3f167918, v43 :: v_dual_sub_f32 v37, v38, v37
	v_sub_f32_e32 v38, v39, v40
	v_fmac_f32_e32 v87, 0xbf167918, v44
	v_add_f32_e32 v39, v33, v36
	v_dual_fmac_f32 v85, 0x3f167918, v44 :: v_dual_add_f32 v44, v31, v35
	v_dual_add_f32 v41, v42, v41 :: v_dual_add_f32 v42, v47, v40
	v_fmac_f32_e32 v83, 0x3e9e377a, v66
	v_fmac_f32_e32 v46, 0x3e9e377a, v66
	v_add_f32_e32 v38, v37, v38
	v_sub_f32_e32 v40, v31, v33
	v_sub_f32_e32 v43, v35, v36
	v_fma_f32 v37, -0.5, v39, v68
	v_dual_sub_f32 v47, v29, v32 :: v_dual_add_f32 v66, v68, v31
	v_fma_f32 v68, -0.5, v44, v68
	v_sub_f32_e32 v44, v30, v34
	s_delay_alu instid0(VALU_DEP_3)
	v_dual_add_f32 v40, v40, v43 :: v_dual_fmamk_f32 v39, v47, 0x3f737871, v37
	v_fmac_f32_e32 v37, 0xbf737871, v47
	v_sub_f32_e32 v67, v33, v31
	v_sub_f32_e32 v88, v36, v35
	v_fmamk_f32 v43, v44, 0xbf737871, v68
	v_fmac_f32_e32 v68, 0x3f737871, v44
	v_fmac_f32_e32 v39, 0x3f167918, v44
	v_fmac_f32_e32 v37, 0xbf167918, v44
	s_delay_alu instid0(VALU_DEP_4) | instskip(NEXT) | instid1(VALU_DEP_4)
	v_dual_add_f32 v44, v67, v88 :: v_dual_fmac_f32 v43, 0x3f167918, v47
	v_fmac_f32_e32 v68, 0xbf167918, v47
	v_fmac_f32_e32 v87, 0x3e9e377a, v38
	;; [unrolled: 1-line block ×3, first 2 shown]
	v_dual_fmac_f32 v39, 0x3e9e377a, v40 :: v_dual_add_f32 v38, v30, v34
	v_fmac_f32_e32 v37, 0x3e9e377a, v40
	v_fmac_f32_e32 v43, 0x3e9e377a, v44
	;; [unrolled: 1-line block ×3, first 2 shown]
	v_add_f32_e32 v40, v66, v33
	v_sub_f32_e32 v44, v29, v30
	v_dual_sub_f32 v47, v32, v34 :: v_dual_add_f32 v66, v69, v29
	v_add_f32_e32 v67, v29, v32
	v_fma_f32 v38, -0.5, v38, v69
	v_add_f32_e32 v40, v40, v36
	s_delay_alu instid0(VALU_DEP_4) | instskip(SKIP_2) | instid1(VALU_DEP_4)
	v_dual_sub_f32 v33, v33, v36 :: v_dual_add_f32 v36, v44, v47
	v_dual_add_f32 v44, v66, v30 :: v_dual_sub_f32 v31, v31, v35
	v_dual_fmac_f32 v69, -0.5, v67 :: v_dual_sub_f32 v30, v30, v29
	v_add_f32_e32 v29, v40, v35
	s_delay_alu instid0(VALU_DEP_3) | instskip(SKIP_1) | instid1(VALU_DEP_4)
	v_dual_add_f32 v35, v44, v34 :: v_dual_fmamk_f32 v40, v31, 0xbf737871, v38
	v_fmac_f32_e32 v38, 0x3f737871, v31
	v_fmamk_f32 v44, v33, 0x3f737871, v69
	v_dual_sub_f32 v34, v34, v32 :: v_dual_fmac_f32 v69, 0xbf737871, v33
	s_delay_alu instid0(VALU_DEP_4) | instskip(NEXT) | instid1(VALU_DEP_4)
	v_fmac_f32_e32 v40, 0xbf167918, v33
	v_fmac_f32_e32 v38, 0x3f167918, v33
	s_delay_alu instid0(VALU_DEP_3) | instskip(NEXT) | instid1(VALU_DEP_4)
	v_dual_fmac_f32 v44, 0xbf167918, v31 :: v_dual_add_f32 v33, v30, v34
	v_dual_fmac_f32 v69, 0x3f167918, v31 :: v_dual_add_f32 v30, v35, v32
	s_delay_alu instid0(VALU_DEP_4) | instskip(NEXT) | instid1(VALU_DEP_4)
	v_fmac_f32_e32 v40, 0x3e9e377a, v36
	v_fmac_f32_e32 v38, 0x3e9e377a, v36
	s_delay_alu instid0(VALU_DEP_4) | instskip(NEXT) | instid1(VALU_DEP_4)
	v_fmac_f32_e32 v44, 0x3e9e377a, v33
	v_fmac_f32_e32 v69, 0x3e9e377a, v33
	global_wb scope:SCOPE_SE
	s_barrier_signal -1
	s_barrier_wait -1
	global_inv scope:SCOPE_SE
	ds_store_2addr_b64 v52, v[15:16], v[23:24] offset1:125
	ds_store_2addr_b64 v61, v[11:12], v[19:20] offset0:110 offset1:235
	ds_store_2addr_b64 v59, v[13:14], v[21:22] offset0:92 offset1:217
	;; [unrolled: 1-line block ×14, first 2 shown]
	global_wb scope:SCOPE_SE
	s_wait_dscnt 0x0
	s_barrier_signal -1
	s_barrier_wait -1
	global_inv scope:SCOPE_SE
	s_and_saveexec_b32 s0, vcc_lo
	s_cbranch_execz .LBB0_19
; %bb.18:
	v_lshl_add_u32 v6, v48, 3, 0
	v_add_nc_u32_e32 v7, 0x7d, v48
	v_mov_b32_e32 v49, v8
	v_add_co_u32 v25, vcc_lo, s8, v50
	s_delay_alu instid0(VALU_DEP_4)
	v_add_nc_u32_e32 v9, 0x400, v6
	ds_load_2addr_b64 v[0:3], v6 offset1:125
	v_lshlrev_b64_e32 v[13:14], 3, v[7:8]
	v_add_nc_u32_e32 v7, 0xfa, v48
	v_lshlrev_b64_e32 v[4:5], 3, v[48:49]
	ds_load_2addr_b64 v[9:12], v9 offset0:122 offset1:247
	s_wait_alu 0xfffd
	v_add_co_ci_u32_e32 v26, vcc_lo, s9, v51, vcc_lo
	v_lshlrev_b64_e32 v[15:16], 3, v[7:8]
	v_add_nc_u32_e32 v7, 0x177, v48
	v_add_co_u32 v4, vcc_lo, v25, v4
	s_wait_alu 0xfffd
	v_add_co_ci_u32_e32 v5, vcc_lo, v26, v5, vcc_lo
	v_add_co_u32 v13, vcc_lo, v25, v13
	v_lshlrev_b64_e32 v[17:18], 3, v[7:8]
	s_wait_alu 0xfffd
	v_add_co_ci_u32_e32 v14, vcc_lo, v26, v14, vcc_lo
	v_add_co_u32 v15, vcc_lo, v25, v15
	v_add_nc_u32_e32 v7, 0x1f4, v48
	s_wait_alu 0xfffd
	v_add_co_ci_u32_e32 v16, vcc_lo, v26, v16, vcc_lo
	v_add_co_u32 v17, vcc_lo, v25, v17
	s_wait_alu 0xfffd
	v_add_co_ci_u32_e32 v18, vcc_lo, v26, v18, vcc_lo
	v_add_nc_u32_e32 v21, 0xc00, v6
	v_lshlrev_b64_e32 v[19:20], 3, v[7:8]
	v_add_nc_u32_e32 v7, 0x271, v48
	s_wait_dscnt 0x1
	s_clause 0x1
	global_store_b64 v[4:5], v[0:1], off
	global_store_b64 v[13:14], v[2:3], off
	s_wait_dscnt 0x0
	s_clause 0x1
	global_store_b64 v[15:16], v[9:10], off
	global_store_b64 v[17:18], v[11:12], off
	v_add_nc_u32_e32 v9, 0x1400, v6
	ds_load_2addr_b64 v[0:3], v21 offset0:116 offset1:241
	v_add_nc_u32_e32 v21, 0x1c00, v6
	v_lshlrev_b64_e32 v[4:5], 3, v[7:8]
	v_add_nc_u32_e32 v7, 0x2ee, v48
	ds_load_2addr_b64 v[9:12], v9 offset0:110 offset1:235
	v_add_co_u32 v13, vcc_lo, v25, v19
	s_wait_alu 0xfffd
	v_add_co_ci_u32_e32 v14, vcc_lo, v26, v20, vcc_lo
	v_lshlrev_b64_e32 v[15:16], 3, v[7:8]
	v_add_nc_u32_e32 v7, 0x36b, v48
	v_add_co_u32 v4, vcc_lo, v25, v4
	s_wait_alu 0xfffd
	v_add_co_ci_u32_e32 v5, vcc_lo, v26, v5, vcc_lo
	s_delay_alu instid0(VALU_DEP_3) | instskip(SKIP_4) | instid1(VALU_DEP_4)
	v_lshlrev_b64_e32 v[17:18], 3, v[7:8]
	v_add_co_u32 v15, vcc_lo, v25, v15
	v_add_nc_u32_e32 v7, 0x3e8, v48
	s_wait_alu 0xfffd
	v_add_co_ci_u32_e32 v16, vcc_lo, v26, v16, vcc_lo
	v_add_co_u32 v17, vcc_lo, v25, v17
	s_wait_alu 0xfffd
	v_add_co_ci_u32_e32 v18, vcc_lo, v26, v18, vcc_lo
	v_lshlrev_b64_e32 v[19:20], 3, v[7:8]
	v_add_nc_u32_e32 v7, 0x465, v48
	s_wait_dscnt 0x1
	s_clause 0x1
	global_store_b64 v[13:14], v[0:1], off
	global_store_b64 v[4:5], v[2:3], off
	s_wait_dscnt 0x0
	s_clause 0x1
	global_store_b64 v[15:16], v[9:10], off
	global_store_b64 v[17:18], v[11:12], off
	v_add_nc_u32_e32 v9, 0x2400, v6
	ds_load_2addr_b64 v[0:3], v21 offset0:104 offset1:229
	v_add_nc_u32_e32 v21, 0x2c00, v6
	v_lshlrev_b64_e32 v[4:5], 3, v[7:8]
	v_add_nc_u32_e32 v7, 0x4e2, v48
	ds_load_2addr_b64 v[9:12], v9 offset0:98 offset1:223
	v_add_co_u32 v13, vcc_lo, v25, v19
	s_wait_alu 0xfffd
	v_add_co_ci_u32_e32 v14, vcc_lo, v26, v20, vcc_lo
	v_lshlrev_b64_e32 v[15:16], 3, v[7:8]
	v_add_nc_u32_e32 v7, 0x55f, v48
	v_add_co_u32 v4, vcc_lo, v25, v4
	s_wait_alu 0xfffd
	v_add_co_ci_u32_e32 v5, vcc_lo, v26, v5, vcc_lo
	s_delay_alu instid0(VALU_DEP_3) | instskip(SKIP_4) | instid1(VALU_DEP_4)
	v_lshlrev_b64_e32 v[17:18], 3, v[7:8]
	v_add_co_u32 v15, vcc_lo, v25, v15
	v_add_nc_u32_e32 v7, 0x5dc, v48
	s_wait_alu 0xfffd
	v_add_co_ci_u32_e32 v16, vcc_lo, v26, v16, vcc_lo
	v_add_co_u32 v17, vcc_lo, v25, v17
	s_wait_alu 0xfffd
	v_add_co_ci_u32_e32 v18, vcc_lo, v26, v18, vcc_lo
	;; [unrolled: 33-line block ×4, first 2 shown]
	v_lshlrev_b64_e32 v[19:20], 3, v[7:8]
	v_add_nc_u32_e32 v7, 0xa41, v48
	s_wait_dscnt 0x1
	s_clause 0x1
	global_store_b64 v[13:14], v[0:1], off
	global_store_b64 v[4:5], v[2:3], off
	s_wait_dscnt 0x0
	s_clause 0x1
	global_store_b64 v[15:16], v[9:10], off
	global_store_b64 v[17:18], v[11:12], off
	v_add_nc_u32_e32 v9, 0x5400, v6
	ds_load_2addr_b64 v[0:3], v21 offset0:68 offset1:193
	v_add_nc_u32_e32 v21, 0x5c00, v6
	v_lshlrev_b64_e32 v[4:5], 3, v[7:8]
	v_add_nc_u32_e32 v7, 0xabe, v48
	ds_load_2addr_b64 v[9:12], v9 offset0:62 offset1:187
	v_add_co_u32 v13, vcc_lo, v25, v19
	s_wait_alu 0xfffd
	v_add_co_ci_u32_e32 v14, vcc_lo, v26, v20, vcc_lo
	v_lshlrev_b64_e32 v[15:16], 3, v[7:8]
	v_add_nc_u32_e32 v7, 0xb3b, v48
	v_add_co_u32 v4, vcc_lo, v25, v4
	s_wait_alu 0xfffd
	v_add_co_ci_u32_e32 v5, vcc_lo, v26, v5, vcc_lo
	s_delay_alu instid0(VALU_DEP_3) | instskip(SKIP_4) | instid1(VALU_DEP_3)
	v_lshlrev_b64_e32 v[17:18], 3, v[7:8]
	v_add_nc_u32_e32 v7, 0xbb8, v48
	v_add_co_u32 v15, vcc_lo, v25, v15
	s_wait_alu 0xfffd
	v_add_co_ci_u32_e32 v16, vcc_lo, v26, v16, vcc_lo
	v_lshlrev_b64_e32 v[19:20], 3, v[7:8]
	v_add_nc_u32_e32 v7, 0xc35, v48
	v_add_co_u32 v17, vcc_lo, v25, v17
	s_wait_alu 0xfffd
	v_add_co_ci_u32_e32 v18, vcc_lo, v26, v18, vcc_lo
	s_wait_dscnt 0x1
	s_clause 0x1
	global_store_b64 v[13:14], v[0:1], off
	global_store_b64 v[4:5], v[2:3], off
	s_wait_dscnt 0x0
	s_clause 0x1
	global_store_b64 v[15:16], v[9:10], off
	global_store_b64 v[17:18], v[11:12], off
	v_lshlrev_b64_e32 v[4:5], 3, v[7:8]
	v_add_nc_u32_e32 v7, 0xcb2, v48
	v_add_co_u32 v17, vcc_lo, v25, v19
	v_add_nc_u32_e32 v9, 0x6400, v6
	v_add_nc_u32_e32 v6, 0x6c00, v6
	s_delay_alu instid0(VALU_DEP_4)
	v_lshlrev_b64_e32 v[13:14], 3, v[7:8]
	v_add_nc_u32_e32 v7, 0xd2f, v48
	s_wait_alu 0xfffd
	v_add_co_ci_u32_e32 v18, vcc_lo, v26, v20, vcc_lo
	v_add_co_u32 v4, vcc_lo, v25, v4
	ds_load_2addr_b64 v[0:3], v21 offset0:56 offset1:181
	s_wait_alu 0xfffd
	v_add_co_ci_u32_e32 v5, vcc_lo, v26, v5, vcc_lo
	ds_load_2addr_b64 v[9:12], v9 offset0:50 offset1:175
	v_lshlrev_b64_e32 v[19:20], 3, v[7:8]
	v_add_nc_u32_e32 v7, 0xdac, v48
	v_add_co_u32 v21, vcc_lo, v25, v13
	s_wait_alu 0xfffd
	v_add_co_ci_u32_e32 v22, vcc_lo, v26, v14, vcc_lo
	ds_load_2addr_b64 v[13:16], v6 offset0:44 offset1:169
	v_lshlrev_b64_e32 v[23:24], 3, v[7:8]
	v_add_nc_u32_e32 v7, 0xe29, v48
	v_add_co_u32 v19, vcc_lo, v25, v19
	s_wait_alu 0xfffd
	v_add_co_ci_u32_e32 v20, vcc_lo, v26, v20, vcc_lo
	s_delay_alu instid0(VALU_DEP_3) | instskip(SKIP_3) | instid1(VALU_DEP_3)
	v_lshlrev_b64_e32 v[6:7], 3, v[7:8]
	v_add_co_u32 v23, vcc_lo, v25, v23
	s_wait_alu 0xfffd
	v_add_co_ci_u32_e32 v24, vcc_lo, v26, v24, vcc_lo
	v_add_co_u32 v6, vcc_lo, v25, v6
	s_wait_alu 0xfffd
	v_add_co_ci_u32_e32 v7, vcc_lo, v26, v7, vcc_lo
	s_wait_dscnt 0x2
	s_clause 0x1
	global_store_b64 v[17:18], v[0:1], off
	global_store_b64 v[4:5], v[2:3], off
	s_wait_dscnt 0x1
	s_clause 0x1
	global_store_b64 v[21:22], v[9:10], off
	global_store_b64 v[19:20], v[11:12], off
	;; [unrolled: 4-line block ×3, first 2 shown]
.LBB0_19:
	s_nop 0
	s_sendmsg sendmsg(MSG_DEALLOC_VGPRS)
	s_endpgm
	.section	.rodata,"a",@progbits
	.p2align	6, 0x0
	.amdhsa_kernel fft_rtc_fwd_len3750_factors_3_5_5_10_5_wgs_125_tpt_125_halfLds_sp_ip_CI_unitstride_sbrr_C2R_dirReg
		.amdhsa_group_segment_fixed_size 0
		.amdhsa_private_segment_fixed_size 0
		.amdhsa_kernarg_size 88
		.amdhsa_user_sgpr_count 2
		.amdhsa_user_sgpr_dispatch_ptr 0
		.amdhsa_user_sgpr_queue_ptr 0
		.amdhsa_user_sgpr_kernarg_segment_ptr 1
		.amdhsa_user_sgpr_dispatch_id 0
		.amdhsa_user_sgpr_private_segment_size 0
		.amdhsa_wavefront_size32 1
		.amdhsa_uses_dynamic_stack 0
		.amdhsa_enable_private_segment 0
		.amdhsa_system_sgpr_workgroup_id_x 1
		.amdhsa_system_sgpr_workgroup_id_y 0
		.amdhsa_system_sgpr_workgroup_id_z 0
		.amdhsa_system_sgpr_workgroup_info 0
		.amdhsa_system_vgpr_workitem_id 0
		.amdhsa_next_free_vgpr 176
		.amdhsa_next_free_sgpr 32
		.amdhsa_reserve_vcc 1
		.amdhsa_float_round_mode_32 0
		.amdhsa_float_round_mode_16_64 0
		.amdhsa_float_denorm_mode_32 3
		.amdhsa_float_denorm_mode_16_64 3
		.amdhsa_fp16_overflow 0
		.amdhsa_workgroup_processor_mode 1
		.amdhsa_memory_ordered 1
		.amdhsa_forward_progress 0
		.amdhsa_round_robin_scheduling 0
		.amdhsa_exception_fp_ieee_invalid_op 0
		.amdhsa_exception_fp_denorm_src 0
		.amdhsa_exception_fp_ieee_div_zero 0
		.amdhsa_exception_fp_ieee_overflow 0
		.amdhsa_exception_fp_ieee_underflow 0
		.amdhsa_exception_fp_ieee_inexact 0
		.amdhsa_exception_int_div_zero 0
	.end_amdhsa_kernel
	.text
.Lfunc_end0:
	.size	fft_rtc_fwd_len3750_factors_3_5_5_10_5_wgs_125_tpt_125_halfLds_sp_ip_CI_unitstride_sbrr_C2R_dirReg, .Lfunc_end0-fft_rtc_fwd_len3750_factors_3_5_5_10_5_wgs_125_tpt_125_halfLds_sp_ip_CI_unitstride_sbrr_C2R_dirReg
                                        ; -- End function
	.section	.AMDGPU.csdata,"",@progbits
; Kernel info:
; codeLenInByte = 21540
; NumSgprs: 34
; NumVgprs: 176
; ScratchSize: 0
; MemoryBound: 0
; FloatMode: 240
; IeeeMode: 1
; LDSByteSize: 0 bytes/workgroup (compile time only)
; SGPRBlocks: 4
; VGPRBlocks: 21
; NumSGPRsForWavesPerEU: 34
; NumVGPRsForWavesPerEU: 176
; Occupancy: 8
; WaveLimiterHint : 1
; COMPUTE_PGM_RSRC2:SCRATCH_EN: 0
; COMPUTE_PGM_RSRC2:USER_SGPR: 2
; COMPUTE_PGM_RSRC2:TRAP_HANDLER: 0
; COMPUTE_PGM_RSRC2:TGID_X_EN: 1
; COMPUTE_PGM_RSRC2:TGID_Y_EN: 0
; COMPUTE_PGM_RSRC2:TGID_Z_EN: 0
; COMPUTE_PGM_RSRC2:TIDIG_COMP_CNT: 0
	.text
	.p2alignl 7, 3214868480
	.fill 96, 4, 3214868480
	.type	__hip_cuid_758818ab247660b9,@object ; @__hip_cuid_758818ab247660b9
	.section	.bss,"aw",@nobits
	.globl	__hip_cuid_758818ab247660b9
__hip_cuid_758818ab247660b9:
	.byte	0                               ; 0x0
	.size	__hip_cuid_758818ab247660b9, 1

	.ident	"AMD clang version 19.0.0git (https://github.com/RadeonOpenCompute/llvm-project roc-6.4.0 25133 c7fe45cf4b819c5991fe208aaa96edf142730f1d)"
	.section	".note.GNU-stack","",@progbits
	.addrsig
	.addrsig_sym __hip_cuid_758818ab247660b9
	.amdgpu_metadata
---
amdhsa.kernels:
  - .args:
      - .actual_access:  read_only
        .address_space:  global
        .offset:         0
        .size:           8
        .value_kind:     global_buffer
      - .offset:         8
        .size:           8
        .value_kind:     by_value
      - .actual_access:  read_only
        .address_space:  global
        .offset:         16
        .size:           8
        .value_kind:     global_buffer
      - .actual_access:  read_only
        .address_space:  global
        .offset:         24
        .size:           8
        .value_kind:     global_buffer
      - .offset:         32
        .size:           8
        .value_kind:     by_value
      - .actual_access:  read_only
        .address_space:  global
        .offset:         40
        .size:           8
        .value_kind:     global_buffer
      - .actual_access:  read_only
        .address_space:  global
        .offset:         48
        .size:           8
        .value_kind:     global_buffer
      - .offset:         56
        .size:           4
        .value_kind:     by_value
      - .actual_access:  read_only
        .address_space:  global
        .offset:         64
        .size:           8
        .value_kind:     global_buffer
      - .actual_access:  read_only
        .address_space:  global
        .offset:         72
        .size:           8
        .value_kind:     global_buffer
      - .address_space:  global
        .offset:         80
        .size:           8
        .value_kind:     global_buffer
    .group_segment_fixed_size: 0
    .kernarg_segment_align: 8
    .kernarg_segment_size: 88
    .language:       OpenCL C
    .language_version:
      - 2
      - 0
    .max_flat_workgroup_size: 125
    .name:           fft_rtc_fwd_len3750_factors_3_5_5_10_5_wgs_125_tpt_125_halfLds_sp_ip_CI_unitstride_sbrr_C2R_dirReg
    .private_segment_fixed_size: 0
    .sgpr_count:     34
    .sgpr_spill_count: 0
    .symbol:         fft_rtc_fwd_len3750_factors_3_5_5_10_5_wgs_125_tpt_125_halfLds_sp_ip_CI_unitstride_sbrr_C2R_dirReg.kd
    .uniform_work_group_size: 1
    .uses_dynamic_stack: false
    .vgpr_count:     176
    .vgpr_spill_count: 0
    .wavefront_size: 32
    .workgroup_processor_mode: 1
amdhsa.target:   amdgcn-amd-amdhsa--gfx1201
amdhsa.version:
  - 1
  - 2
...

	.end_amdgpu_metadata
